;; amdgpu-corpus repo=ROCm/rocFFT kind=compiled arch=gfx1030 opt=O3
	.text
	.amdgcn_target "amdgcn-amd-amdhsa--gfx1030"
	.amdhsa_code_object_version 6
	.protected	fft_rtc_back_len1260_factors_2_2_3_3_5_7_wgs_63_tpt_63_halfLds_sp_op_CI_CI_unitstride_sbrr_R2C_dirReg ; -- Begin function fft_rtc_back_len1260_factors_2_2_3_3_5_7_wgs_63_tpt_63_halfLds_sp_op_CI_CI_unitstride_sbrr_R2C_dirReg
	.globl	fft_rtc_back_len1260_factors_2_2_3_3_5_7_wgs_63_tpt_63_halfLds_sp_op_CI_CI_unitstride_sbrr_R2C_dirReg
	.p2align	8
	.type	fft_rtc_back_len1260_factors_2_2_3_3_5_7_wgs_63_tpt_63_halfLds_sp_op_CI_CI_unitstride_sbrr_R2C_dirReg,@function
fft_rtc_back_len1260_factors_2_2_3_3_5_7_wgs_63_tpt_63_halfLds_sp_op_CI_CI_unitstride_sbrr_R2C_dirReg: ; @fft_rtc_back_len1260_factors_2_2_3_3_5_7_wgs_63_tpt_63_halfLds_sp_op_CI_CI_unitstride_sbrr_R2C_dirReg
; %bb.0:
	s_clause 0x2
	s_load_dwordx4 s[12:15], s[4:5], 0x0
	s_load_dwordx4 s[8:11], s[4:5], 0x58
	;; [unrolled: 1-line block ×3, first 2 shown]
	v_mul_u32_u24_e32 v1, 0x411, v0
	v_mov_b32_e32 v3, 0
	v_add_nc_u32_sdwa v5, s6, v1 dst_sel:DWORD dst_unused:UNUSED_PAD src0_sel:DWORD src1_sel:WORD_1
	v_mov_b32_e32 v1, 0
	v_mov_b32_e32 v6, v3
	v_mov_b32_e32 v2, 0
	s_waitcnt lgkmcnt(0)
	v_cmp_lt_u64_e64 s0, s[14:15], 2
	s_and_b32 vcc_lo, exec_lo, s0
	s_cbranch_vccnz .LBB0_8
; %bb.1:
	s_load_dwordx2 s[0:1], s[4:5], 0x10
	v_mov_b32_e32 v1, 0
	v_mov_b32_e32 v2, 0
	s_add_u32 s2, s18, 8
	s_addc_u32 s3, s19, 0
	s_add_u32 s6, s16, 8
	s_addc_u32 s7, s17, 0
	v_mov_b32_e32 v41, v2
	v_mov_b32_e32 v40, v1
	s_mov_b64 s[22:23], 1
	s_waitcnt lgkmcnt(0)
	s_add_u32 s20, s0, 8
	s_addc_u32 s21, s1, 0
.LBB0_2:                                ; =>This Inner Loop Header: Depth=1
	s_load_dwordx2 s[24:25], s[20:21], 0x0
                                        ; implicit-def: $vgpr46_vgpr47
	s_mov_b32 s0, exec_lo
	s_waitcnt lgkmcnt(0)
	v_or_b32_e32 v4, s25, v6
	v_cmpx_ne_u64_e32 0, v[3:4]
	s_xor_b32 s1, exec_lo, s0
	s_cbranch_execz .LBB0_4
; %bb.3:                                ;   in Loop: Header=BB0_2 Depth=1
	v_cvt_f32_u32_e32 v4, s24
	v_cvt_f32_u32_e32 v7, s25
	s_sub_u32 s0, 0, s24
	s_subb_u32 s26, 0, s25
	v_fmac_f32_e32 v4, 0x4f800000, v7
	v_rcp_f32_e32 v4, v4
	v_mul_f32_e32 v4, 0x5f7ffffc, v4
	v_mul_f32_e32 v7, 0x2f800000, v4
	v_trunc_f32_e32 v7, v7
	v_fmac_f32_e32 v4, 0xcf800000, v7
	v_cvt_u32_f32_e32 v7, v7
	v_cvt_u32_f32_e32 v4, v4
	v_mul_lo_u32 v8, s0, v7
	v_mul_hi_u32 v9, s0, v4
	v_mul_lo_u32 v10, s26, v4
	v_add_nc_u32_e32 v8, v9, v8
	v_mul_lo_u32 v9, s0, v4
	v_add_nc_u32_e32 v8, v8, v10
	v_mul_hi_u32 v10, v4, v9
	v_mul_lo_u32 v11, v4, v8
	v_mul_hi_u32 v12, v4, v8
	v_mul_hi_u32 v13, v7, v9
	v_mul_lo_u32 v9, v7, v9
	v_mul_hi_u32 v14, v7, v8
	v_mul_lo_u32 v8, v7, v8
	v_add_co_u32 v10, vcc_lo, v10, v11
	v_add_co_ci_u32_e32 v11, vcc_lo, 0, v12, vcc_lo
	v_add_co_u32 v9, vcc_lo, v10, v9
	v_add_co_ci_u32_e32 v9, vcc_lo, v11, v13, vcc_lo
	v_add_co_ci_u32_e32 v10, vcc_lo, 0, v14, vcc_lo
	v_add_co_u32 v8, vcc_lo, v9, v8
	v_add_co_ci_u32_e32 v9, vcc_lo, 0, v10, vcc_lo
	v_add_co_u32 v4, vcc_lo, v4, v8
	v_add_co_ci_u32_e32 v7, vcc_lo, v7, v9, vcc_lo
	v_mul_hi_u32 v8, s0, v4
	v_mul_lo_u32 v10, s26, v4
	v_mul_lo_u32 v9, s0, v7
	v_add_nc_u32_e32 v8, v8, v9
	v_mul_lo_u32 v9, s0, v4
	v_add_nc_u32_e32 v8, v8, v10
	v_mul_hi_u32 v10, v4, v9
	v_mul_lo_u32 v11, v4, v8
	v_mul_hi_u32 v12, v4, v8
	v_mul_hi_u32 v13, v7, v9
	v_mul_lo_u32 v9, v7, v9
	v_mul_hi_u32 v14, v7, v8
	v_mul_lo_u32 v8, v7, v8
	v_add_co_u32 v10, vcc_lo, v10, v11
	v_add_co_ci_u32_e32 v11, vcc_lo, 0, v12, vcc_lo
	v_add_co_u32 v9, vcc_lo, v10, v9
	v_add_co_ci_u32_e32 v9, vcc_lo, v11, v13, vcc_lo
	v_add_co_ci_u32_e32 v10, vcc_lo, 0, v14, vcc_lo
	v_add_co_u32 v8, vcc_lo, v9, v8
	v_add_co_ci_u32_e32 v9, vcc_lo, 0, v10, vcc_lo
	v_add_co_u32 v4, vcc_lo, v4, v8
	v_add_co_ci_u32_e32 v11, vcc_lo, v7, v9, vcc_lo
	v_mul_hi_u32 v13, v5, v4
	v_mad_u64_u32 v[9:10], null, v6, v4, 0
	v_mad_u64_u32 v[7:8], null, v5, v11, 0
	;; [unrolled: 1-line block ×3, first 2 shown]
	v_add_co_u32 v4, vcc_lo, v13, v7
	v_add_co_ci_u32_e32 v7, vcc_lo, 0, v8, vcc_lo
	v_add_co_u32 v4, vcc_lo, v4, v9
	v_add_co_ci_u32_e32 v4, vcc_lo, v7, v10, vcc_lo
	v_add_co_ci_u32_e32 v7, vcc_lo, 0, v12, vcc_lo
	v_add_co_u32 v4, vcc_lo, v4, v11
	v_add_co_ci_u32_e32 v9, vcc_lo, 0, v7, vcc_lo
	v_mul_lo_u32 v10, s25, v4
	v_mad_u64_u32 v[7:8], null, s24, v4, 0
	v_mul_lo_u32 v11, s24, v9
	v_sub_co_u32 v7, vcc_lo, v5, v7
	v_add3_u32 v8, v8, v11, v10
	v_sub_nc_u32_e32 v10, v6, v8
	v_subrev_co_ci_u32_e64 v10, s0, s25, v10, vcc_lo
	v_add_co_u32 v11, s0, v4, 2
	v_add_co_ci_u32_e64 v12, s0, 0, v9, s0
	v_sub_co_u32 v13, s0, v7, s24
	v_sub_co_ci_u32_e32 v8, vcc_lo, v6, v8, vcc_lo
	v_subrev_co_ci_u32_e64 v10, s0, 0, v10, s0
	v_cmp_le_u32_e32 vcc_lo, s24, v13
	v_cmp_eq_u32_e64 s0, s25, v8
	v_cndmask_b32_e64 v13, 0, -1, vcc_lo
	v_cmp_le_u32_e32 vcc_lo, s25, v10
	v_cndmask_b32_e64 v14, 0, -1, vcc_lo
	v_cmp_le_u32_e32 vcc_lo, s24, v7
	;; [unrolled: 2-line block ×3, first 2 shown]
	v_cndmask_b32_e64 v15, 0, -1, vcc_lo
	v_cmp_eq_u32_e32 vcc_lo, s25, v10
	v_cndmask_b32_e64 v7, v15, v7, s0
	v_cndmask_b32_e32 v10, v14, v13, vcc_lo
	v_add_co_u32 v13, vcc_lo, v4, 1
	v_add_co_ci_u32_e32 v14, vcc_lo, 0, v9, vcc_lo
	v_cmp_ne_u32_e32 vcc_lo, 0, v10
	v_cndmask_b32_e32 v8, v14, v12, vcc_lo
	v_cndmask_b32_e32 v10, v13, v11, vcc_lo
	v_cmp_ne_u32_e32 vcc_lo, 0, v7
	v_cndmask_b32_e32 v47, v9, v8, vcc_lo
	v_cndmask_b32_e32 v46, v4, v10, vcc_lo
.LBB0_4:                                ;   in Loop: Header=BB0_2 Depth=1
	s_andn2_saveexec_b32 s0, s1
	s_cbranch_execz .LBB0_6
; %bb.5:                                ;   in Loop: Header=BB0_2 Depth=1
	v_cvt_f32_u32_e32 v4, s24
	s_sub_i32 s1, 0, s24
	v_mov_b32_e32 v47, v3
	v_rcp_iflag_f32_e32 v4, v4
	v_mul_f32_e32 v4, 0x4f7ffffe, v4
	v_cvt_u32_f32_e32 v4, v4
	v_mul_lo_u32 v7, s1, v4
	v_mul_hi_u32 v7, v4, v7
	v_add_nc_u32_e32 v4, v4, v7
	v_mul_hi_u32 v4, v5, v4
	v_mul_lo_u32 v7, v4, s24
	v_add_nc_u32_e32 v8, 1, v4
	v_sub_nc_u32_e32 v7, v5, v7
	v_subrev_nc_u32_e32 v9, s24, v7
	v_cmp_le_u32_e32 vcc_lo, s24, v7
	v_cndmask_b32_e32 v7, v7, v9, vcc_lo
	v_cndmask_b32_e32 v4, v4, v8, vcc_lo
	v_cmp_le_u32_e32 vcc_lo, s24, v7
	v_add_nc_u32_e32 v8, 1, v4
	v_cndmask_b32_e32 v46, v4, v8, vcc_lo
.LBB0_6:                                ;   in Loop: Header=BB0_2 Depth=1
	s_or_b32 exec_lo, exec_lo, s0
	v_mul_lo_u32 v4, v47, s24
	v_mul_lo_u32 v9, v46, s25
	s_load_dwordx2 s[0:1], s[6:7], 0x0
	v_mad_u64_u32 v[7:8], null, v46, s24, 0
	s_load_dwordx2 s[24:25], s[2:3], 0x0
	s_add_u32 s22, s22, 1
	s_addc_u32 s23, s23, 0
	s_add_u32 s2, s2, 8
	s_addc_u32 s3, s3, 0
	s_add_u32 s6, s6, 8
	v_add3_u32 v4, v8, v9, v4
	v_sub_co_u32 v5, vcc_lo, v5, v7
	s_addc_u32 s7, s7, 0
	s_add_u32 s20, s20, 8
	v_sub_co_ci_u32_e32 v4, vcc_lo, v6, v4, vcc_lo
	s_addc_u32 s21, s21, 0
	s_waitcnt lgkmcnt(0)
	v_mul_lo_u32 v6, s0, v4
	v_mul_lo_u32 v7, s1, v5
	v_mad_u64_u32 v[1:2], null, s0, v5, v[1:2]
	v_mul_lo_u32 v4, s24, v4
	v_mul_lo_u32 v8, s25, v5
	v_mad_u64_u32 v[40:41], null, s24, v5, v[40:41]
	v_cmp_ge_u64_e64 s0, s[22:23], s[14:15]
	v_add3_u32 v2, v7, v2, v6
	v_add3_u32 v41, v8, v41, v4
	s_and_b32 vcc_lo, exec_lo, s0
	s_cbranch_vccnz .LBB0_9
; %bb.7:                                ;   in Loop: Header=BB0_2 Depth=1
	v_mov_b32_e32 v5, v46
	v_mov_b32_e32 v6, v47
	s_branch .LBB0_2
.LBB0_8:
	v_mov_b32_e32 v41, v2
	v_mov_b32_e32 v47, v6
	;; [unrolled: 1-line block ×4, first 2 shown]
.LBB0_9:
	s_load_dwordx2 s[0:1], s[4:5], 0x28
	v_mul_hi_u32 v3, 0x4104105, v0
	s_lshl_b64 s[4:5], s[14:15], 3
                                        ; implicit-def: $vgpr42
                                        ; implicit-def: $vgpr44
                                        ; implicit-def: $vgpr55
                                        ; implicit-def: $vgpr54
                                        ; implicit-def: $vgpr53
                                        ; implicit-def: $vgpr52
                                        ; implicit-def: $vgpr51
                                        ; implicit-def: $vgpr50
                                        ; implicit-def: $vgpr49
                                        ; implicit-def: $vgpr48
	s_add_u32 s2, s18, s4
	s_addc_u32 s3, s19, s5
	s_waitcnt lgkmcnt(0)
	v_cmp_gt_u64_e32 vcc_lo, s[0:1], v[46:47]
	v_cmp_le_u64_e64 s0, s[0:1], v[46:47]
	s_and_saveexec_b32 s1, s0
	s_xor_b32 s0, exec_lo, s1
; %bb.10:
	v_mul_u32_u24_e32 v1, 63, v3
                                        ; implicit-def: $vgpr3
	v_sub_nc_u32_e32 v42, v0, v1
                                        ; implicit-def: $vgpr0
                                        ; implicit-def: $vgpr1_vgpr2
	v_add_nc_u32_e32 v44, 63, v42
	v_add_nc_u32_e32 v55, 0x7e, v42
	;; [unrolled: 1-line block ×9, first 2 shown]
; %bb.11:
	s_andn2_saveexec_b32 s1, s0
	s_cbranch_execz .LBB0_13
; %bb.12:
	s_add_u32 s4, s16, s4
	s_addc_u32 s5, s17, s5
	v_lshlrev_b64 v[1:2], 3, v[1:2]
	s_load_dwordx2 s[4:5], s[4:5], 0x0
	s_waitcnt lgkmcnt(0)
	v_mul_lo_u32 v6, s5, v46
	v_mul_lo_u32 v7, s4, v47
	v_mad_u64_u32 v[4:5], null, s4, v46, 0
	v_add3_u32 v5, v5, v7, v6
	v_mul_u32_u24_e32 v6, 63, v3
	v_lshlrev_b64 v[3:4], 3, v[4:5]
	v_sub_nc_u32_e32 v42, v0, v6
	v_lshlrev_b32_e32 v43, 3, v42
	v_add_co_u32 v0, s0, s8, v3
	v_add_co_ci_u32_e64 v3, s0, s9, v4, s0
	v_add_nc_u32_e32 v44, 63, v42
	v_add_co_u32 v0, s0, v0, v1
	v_add_co_ci_u32_e64 v1, s0, v3, v2, s0
	v_add_nc_u32_e32 v55, 0x7e, v42
	v_add_co_u32 v0, s0, v0, v43
	v_add_co_ci_u32_e64 v1, s0, 0, v1, s0
	s_clause 0x3
	global_load_dwordx2 v[2:3], v[0:1], off
	global_load_dwordx2 v[4:5], v[0:1], off offset:504
	global_load_dwordx2 v[6:7], v[0:1], off offset:1008
	;; [unrolled: 1-line block ×3, first 2 shown]
	v_add_co_u32 v10, s0, 0x800, v0
	v_add_co_ci_u32_e64 v11, s0, 0, v1, s0
	v_add_co_u32 v12, s0, 0x1000, v0
	v_add_co_ci_u32_e64 v13, s0, 0, v1, s0
	v_add_co_u32 v14, s0, 0x1800, v0
	v_add_co_ci_u32_e64 v15, s0, 0, v1, s0
	v_add_co_u32 v16, s0, 0x2000, v0
	v_add_co_ci_u32_e64 v17, s0, 0, v1, s0
	s_clause 0xf
	global_load_dwordx2 v[0:1], v[0:1], off offset:2016
	global_load_dwordx2 v[18:19], v[10:11], off offset:472
	;; [unrolled: 1-line block ×16, first 2 shown]
	v_add_nc_u32_e32 v43, 0, v43
	v_add_nc_u32_e32 v54, 0xbd, v42
	;; [unrolled: 1-line block ×16, first 2 shown]
	s_waitcnt vmcnt(18)
	ds_write2_b64 v43, v[2:3], v[4:5] offset1:63
	s_waitcnt vmcnt(16)
	ds_write2_b64 v43, v[6:7], v[8:9] offset0:126 offset1:189
	s_waitcnt vmcnt(14)
	ds_write2_b64 v45, v[0:1], v[18:19] offset0:124 offset1:187
	;; [unrolled: 2-line block ×9, first 2 shown]
.LBB0_13:
	s_or_b32 exec_lo, exec_lo, s1
	v_lshlrev_b32_e32 v43, 3, v42
	s_load_dwordx2 s[2:3], s[2:3], 0x0
	s_waitcnt lgkmcnt(0)
	s_barrier
	buffer_gl0_inv
	v_add_nc_u32_e32 v65, 0, v43
	v_lshl_add_u32 v38, v44, 4, 0
	v_lshl_add_u32 v39, v55, 4, 0
	;; [unrolled: 1-line block ×4, first 2 shown]
	v_add_nc_u32_e32 v0, 0x1000, v65
	v_add_nc_u32_e32 v5, 0x1400, v65
	ds_read2_b64 v[6:9], v65 offset1:63
	v_add_nc_u32_e32 v22, 0x400, v65
	v_add_nc_u32_e32 v1, 0x1800, v65
	ds_read2_b64 v[10:13], v0 offset0:118 offset1:181
	ds_read2_b64 v[14:17], v65 offset0:126 offset1:189
	;; [unrolled: 1-line block ×3, first 2 shown]
	v_add_nc_u32_e32 v4, 0x800, v65
	v_add_nc_u32_e32 v34, 0xc00, v65
	;; [unrolled: 1-line block ×4, first 2 shown]
	ds_read2_b64 v[22:25], v22 offset0:124 offset1:187
	ds_read2_b64 v[26:29], v1 offset0:114 offset1:177
	;; [unrolled: 1-line block ×6, first 2 shown]
	v_add_nc_u32_e32 v45, v65, v43
	s_waitcnt lgkmcnt(0)
	s_barrier
	buffer_gl0_inv
	v_lshlrev_b32_e32 v70, 3, v48
	v_lshlrev_b32_e32 v71, 3, v53
	;; [unrolled: 1-line block ×3, first 2 shown]
	v_lshl_add_u32 v68, v44, 3, 0
	v_lshl_add_u32 v67, v55, 3, 0
	v_sub_nc_u32_e32 v83, v64, v70
	v_cmp_gt_u32_e64 s0, 42, v42
	v_sub_f32_e32 v10, v6, v10
	v_sub_f32_e32 v11, v7, v11
	;; [unrolled: 1-line block ×6, first 2 shown]
	v_fma_f32 v6, v6, 2.0, -v10
	v_fma_f32 v7, v7, 2.0, -v11
	;; [unrolled: 1-line block ×6, first 2 shown]
	v_sub_f32_e32 v20, v16, v20
	ds_write2_b64 v45, v[6:7], v[10:11] offset1:1
	ds_write2_b64 v38, v[8:9], v[12:13] offset1:1
	;; [unrolled: 1-line block ×3, first 2 shown]
	v_sub_f32_e32 v21, v17, v21
	v_sub_f32_e32 v6, v22, v26
	;; [unrolled: 1-line block ×5, first 2 shown]
	v_fma_f32 v10, v16, 2.0, -v20
	v_fma_f32 v11, v17, 2.0, -v21
	;; [unrolled: 1-line block ×5, first 2 shown]
	v_sub_f32_e32 v22, v34, v60
	v_sub_f32_e32 v24, v36, v62
	v_lshl_add_u32 v60, v54, 4, 0
	v_lshl_add_u32 v62, v53, 4, 0
	v_fma_f32 v15, v25, 2.0, -v9
	v_sub_f32_e32 v23, v35, v61
	v_lshl_add_u32 v61, v52, 4, 0
	v_sub_f32_e32 v16, v30, v56
	v_sub_f32_e32 v17, v31, v57
	;; [unrolled: 1-line block ×5, first 2 shown]
	ds_write2_b64 v60, v[10:11], v[20:21] offset1:1
	ds_write2_b64 v62, v[12:13], v[6:7] offset1:1
	;; [unrolled: 1-line block ×3, first 2 shown]
	v_and_b32_e32 v8, 1, v54
	v_and_b32_e32 v9, 1, v52
	;; [unrolled: 1-line block ×4, first 2 shown]
	v_fma_f32 v26, v30, 2.0, -v16
	v_fma_f32 v27, v31, 2.0, -v17
	;; [unrolled: 1-line block ×6, first 2 shown]
	v_lshl_add_u32 v56, v51, 4, 0
	v_lshlrev_b32_e32 v11, 3, v8
	v_fma_f32 v30, v34, 2.0, -v22
	v_fma_f32 v31, v35, 2.0, -v23
	v_lshl_add_u32 v58, v49, 4, 0
	v_lshlrev_b32_e32 v12, 3, v9
	v_lshlrev_b32_e32 v10, 3, v6
	;; [unrolled: 1-line block ×3, first 2 shown]
	ds_write2_b64 v56, v[26:27], v[16:17] offset1:1
	ds_write2_b64 v66, v[28:29], v[18:19] offset1:1
	;; [unrolled: 1-line block ×4, first 2 shown]
	s_waitcnt lgkmcnt(0)
	s_barrier
	buffer_gl0_inv
	s_clause 0x3
	global_load_dwordx2 v[26:27], v11, s[12:13]
	global_load_dwordx2 v[28:29], v12, s[12:13]
	;; [unrolled: 1-line block ×4, first 2 shown]
	v_and_b32_e32 v10, 1, v50
	v_and_b32_e32 v12, 1, v48
	v_lshlrev_b32_e32 v13, 1, v44
	v_lshlrev_b32_e32 v15, 1, v54
	;; [unrolled: 1-line block ×8, first 2 shown]
	global_load_dwordx2 v[34:35], v11, s[12:13]
	v_lshlrev_b32_e32 v11, 3, v12
	v_and_or_b32 v6, 0xfc, v13, v6
	v_and_or_b32 v8, 0x1fc, v15, v8
	;; [unrolled: 1-line block ×4, first 2 shown]
	global_load_dwordx2 v[36:37], v11, s[12:13]
	v_lshlrev_b32_e32 v11, 1, v42
	v_and_or_b32 v14, 0x3fc, v16, v7
	v_and_or_b32 v15, 0x3fc, v18, v7
	;; [unrolled: 1-line block ×3, first 2 shown]
	v_lshl_add_u32 v94, v6, 3, 0
	v_and_or_b32 v11, 0x7c, v11, v7
	v_lshl_add_u32 v96, v8, 3, 0
	v_lshl_add_u32 v98, v9, 3, 0
	ds_read2_b64 v[6:9], v0 offset0:118 offset1:181
	v_lshlrev_b32_e32 v19, 1, v50
	v_lshlrev_b32_e32 v21, 1, v48
	;; [unrolled: 1-line block ×6, first 2 shown]
	v_and_or_b32 v10, 0x3fc, v19, v10
	v_and_or_b32 v12, 0x4fc, v21, v12
	v_sub_nc_u32_e32 v87, v56, v57
	v_sub_nc_u32_e32 v79, v66, v45
	v_sub_nc_u32_e32 v81, v58, v59
	v_sub_nc_u32_e32 v69, v60, v63
	v_sub_nc_u32_e32 v91, v62, v71
	v_sub_nc_u32_e32 v92, v61, v72
	v_lshl_add_u32 v93, v11, 3, 0
	v_lshl_add_u32 v95, v13, 3, 0
	;; [unrolled: 1-line block ×7, first 2 shown]
	ds_read2_b64 v[10:13], v5 offset0:116 offset1:179
	ds_read2_b64 v[14:17], v1 offset0:114 offset1:177
	;; [unrolled: 1-line block ×4, first 2 shown]
	ds_read_b64 v[38:39], v65
	ds_read_b64 v[73:74], v68
	;; [unrolled: 1-line block ×10, first 2 shown]
	s_waitcnt vmcnt(0) lgkmcnt(0)
	s_barrier
	buffer_gl0_inv
	v_sub_nc_u32_e32 v57, 0, v57
	v_mul_f32_e32 v107, v27, v13
	v_mul_f32_e32 v27, v27, v12
	;; [unrolled: 1-line block ×16, first 2 shown]
	v_fmac_f32_e32 v103, v30, v8
	v_fma_f32 v8, v30, v9, -v5
	v_mul_f32_e32 v30, v23, v33
	v_mul_f32_e32 v5, v22, v33
	v_fmac_f32_e32 v31, v32, v6
	v_fma_f32 v6, v32, v7, -v104
	v_mul_f32_e32 v33, v25, v37
	v_mul_f32_e32 v7, v24, v37
	v_fmac_f32_e32 v105, v32, v10
	v_fma_f32 v10, v32, v11, -v106
	v_fmac_f32_e32 v107, v26, v12
	v_fma_f32 v12, v26, v13, -v27
	v_fmac_f32_e32 v108, v16, v28
	v_fma_f32 v16, v17, v28, -v29
	v_fmac_f32_e32 v109, v14, v32
	v_fma_f32 v14, v15, v32, -v110
	v_fmac_f32_e32 v111, v20, v34
	v_fma_f32 v20, v21, v34, -v35
	v_fmac_f32_e32 v112, v18, v32
	v_fma_f32 v18, v19, v32, -v113
	v_fmac_f32_e32 v30, v22, v32
	v_fma_f32 v22, v23, v32, -v5
	v_fmac_f32_e32 v33, v24, v36
	v_fma_f32 v23, v25, v36, -v7
	v_sub_f32_e32 v5, v38, v31
	v_sub_f32_e32 v6, v39, v6
	;; [unrolled: 1-line block ×20, first 2 shown]
	v_fma_f32 v28, v38, 2.0, -v5
	v_fma_f32 v29, v39, 2.0, -v6
	;; [unrolled: 1-line block ×20, first 2 shown]
	ds_write2_b64 v93, v[28:29], v[5:6] offset1:2
	ds_write2_b64 v94, v[30:31], v[7:8] offset1:2
	;; [unrolled: 1-line block ×10, first 2 shown]
	s_waitcnt lgkmcnt(0)
	s_barrier
	buffer_gl0_inv
	ds_read_b64 v[38:39], v65
	ds_read_b64 v[36:37], v68
	;; [unrolled: 1-line block ×6, first 2 shown]
	ds_read2_b64 v[12:15], v4 offset0:164 offset1:227
	ds_read2_b64 v[8:11], v1 offset0:72 offset1:135
	;; [unrolled: 1-line block ×6, first 2 shown]
	v_add_nc_u32_e32 v69, v56, v57
                                        ; implicit-def: $vgpr57
	s_and_saveexec_b32 s1, s0
	s_cbranch_execz .LBB0_15
; %bb.14:
	ds_read_b64 v[26:27], v65 offset:6384
	ds_read_b64 v[24:25], v69
	ds_read_b64 v[56:57], v65 offset:9744
.LBB0_15:
	s_or_b32 exec_lo, exec_lo, s1
	v_and_b32_e32 v99, 3, v55
	v_and_b32_e32 v100, 3, v54
	;; [unrolled: 1-line block ×5, first 2 shown]
	v_lshlrev_b32_e32 v73, 4, v99
	v_lshlrev_b32_e32 v74, 4, v100
	v_lshrrev_b32_e32 v104, 2, v44
	v_lshrrev_b32_e32 v105, 2, v55
	;; [unrolled: 1-line block ×3, first 2 shown]
	s_clause 0x1
	global_load_dwordx4 v[75:78], v73, s[12:13] offset:16
	global_load_dwordx4 v[79:82], v74, s[12:13] offset:16
	v_lshlrev_b32_e32 v73, 4, v101
	v_lshlrev_b32_e32 v74, 4, v102
	v_lshrrev_b32_e32 v108, 2, v53
	v_lshrrev_b32_e32 v109, 2, v52
	;; [unrolled: 1-line block ×3, first 2 shown]
	s_clause 0x1
	global_load_dwordx4 v[83:86], v73, s[12:13] offset:16
	global_load_dwordx4 v[87:90], v74, s[12:13] offset:16
	v_and_b32_e32 v73, 3, v51
	v_lshlrev_b32_e32 v74, 4, v103
	v_mul_lo_u32 v106, v106, 12
	v_sub_nc_u32_e32 v71, 0, v71
	v_lshlrev_b32_e32 v95, 4, v73
	s_clause 0x1
	global_load_dwordx4 v[91:94], v74, s[12:13] offset:16
	global_load_dwordx4 v[95:98], v95, s[12:13] offset:16
	v_sub_nc_u32_e32 v74, 0, v63
	v_sub_nc_u32_e32 v63, 0, v72
	v_mul_lo_u32 v72, v104, 12
	v_mul_lo_u32 v104, v105, 12
	v_mul_u32_u24_e32 v105, 12, v107
	v_mul_lo_u32 v107, v108, 12
	v_mul_lo_u32 v108, v109, 12
	v_or_b32_e32 v100, v106, v100
	s_waitcnt vmcnt(0) lgkmcnt(0)
	v_or_b32_e32 v105, v105, v101
	v_or_b32_e32 v72, v72, v102
	;; [unrolled: 1-line block ×3, first 2 shown]
	s_barrier
	v_or_b32_e32 v101, v107, v101
	v_or_b32_e32 v102, v108, v103
	v_lshl_add_u32 v103, v105, 3, 0
	v_lshl_add_u32 v72, v72, 3, 0
	;; [unrolled: 1-line block ×3, first 2 shown]
	buffer_gl0_inv
	v_lshl_add_u32 v100, v100, 3, 0
	v_lshl_add_u32 v101, v101, 3, 0
	;; [unrolled: 1-line block ×3, first 2 shown]
	v_mul_f32_e32 v104, v76, v21
	v_mul_f32_e32 v105, v78, v17
	;; [unrolled: 1-line block ×28, first 2 shown]
	v_fmac_f32_e32 v104, v75, v20
	v_fmac_f32_e32 v105, v77, v16
	;; [unrolled: 1-line block ×3, first 2 shown]
	v_fma_f32 v12, v83, v13, -v109
	v_fmac_f32_e32 v112, v87, v14
	v_fmac_f32_e32 v110, v85, v8
	v_fma_f32 v8, v85, v9, -v111
	v_fma_f32 v9, v1, v85, -v86
	v_fmac_f32_e32 v118, v26, v95
	v_fma_f32 v1, v27, v95, -v96
	v_fmac_f32_e32 v119, v56, v97
	v_fma_f32 v14, v57, v97, -v98
	v_fma_f32 v13, v87, v15, -v88
	v_fmac_f32_e32 v113, v89, v10
	v_fma_f32 v10, v89, v11, -v90
	v_fma_f32 v20, v75, v21, -v76
	;; [unrolled: 1-line block ×3, first 2 shown]
	v_fmac_f32_e32 v106, v79, v22
	v_fma_f32 v17, v79, v23, -v80
	v_fmac_f32_e32 v107, v18, v81
	v_fma_f32 v18, v19, v81, -v82
	v_fmac_f32_e32 v114, v4, v83
	v_fma_f32 v4, v5, v83, -v84
	v_fmac_f32_e32 v115, v0, v85
	v_fmac_f32_e32 v116, v6, v91
	v_fma_f32 v0, v7, v91, -v92
	v_fmac_f32_e32 v117, v2, v93
	v_fma_f32 v11, v3, v93, -v94
	v_add_f32_e32 v3, v108, v110
	v_add_f32_e32 v6, v12, v8
	;; [unrolled: 1-line block ×5, first 2 shown]
	v_sub_f32_e32 v15, v12, v8
	v_add_f32_e32 v5, v39, v12
	v_add_f32_e32 v12, v112, v113
	v_sub_f32_e32 v21, v13, v10
	v_add_f32_e32 v22, v37, v13
	v_add_f32_e32 v13, v13, v10
	;; [unrolled: 3-line block ×3, first 2 shown]
	v_add_f32_e32 v2, v38, v108
	v_sub_f32_e32 v19, v108, v110
	v_add_f32_e32 v26, v34, v104
	v_add_f32_e32 v77, v106, v107
	v_sub_f32_e32 v78, v17, v18
	v_add_f32_e32 v79, v33, v17
	v_add_f32_e32 v17, v17, v18
	v_add_f32_e32 v82, v114, v115
	v_add_f32_e32 v85, v4, v9
	v_add_f32_e32 v88, v116, v117
	v_add_f32_e32 v91, v0, v11
	v_add_f32_e32 v93, v24, v118
	v_sub_f32_e32 v95, v1, v14
	v_add_f32_e32 v96, v25, v1
	v_sub_f32_e32 v98, v118, v119
	v_fma_f32 v38, -0.5, v3, v38
	v_fmac_f32_e32 v39, -0.5, v6
	v_fma_f32 v34, -0.5, v27, v34
	v_fmac_f32_e32 v24, -0.5, v94
	v_fmac_f32_e32 v25, -0.5, v97
	v_add_f32_e32 v7, v36, v112
	v_sub_f32_e32 v23, v112, v113
	v_fma_f32 v36, -0.5, v12, v36
	v_fmac_f32_e32 v37, -0.5, v13
	v_sub_f32_e32 v75, v104, v105
	v_fmac_f32_e32 v35, -0.5, v20
	v_add_f32_e32 v76, v32, v106
	v_sub_f32_e32 v80, v106, v107
	v_add_f32_e32 v81, v30, v114
	v_sub_f32_e32 v83, v4, v9
	;; [unrolled: 2-line block ×5, first 2 shown]
	v_add_f32_e32 v0, v2, v110
	v_add_f32_e32 v1, v5, v8
	;; [unrolled: 1-line block ×4, first 2 shown]
	v_fma_f32 v32, -0.5, v77, v32
	v_fmac_f32_e32 v33, -0.5, v17
	v_fma_f32 v30, -0.5, v82, v30
	v_fmac_f32_e32 v31, -0.5, v85
	;; [unrolled: 2-line block ×3, first 2 shown]
	v_add_f32_e32 v26, v93, v119
	v_add_f32_e32 v27, v96, v14
	v_fmamk_f32 v12, v15, 0xbf5db3d7, v38
	v_fmamk_f32 v13, v19, 0x3f5db3d7, v39
	;; [unrolled: 1-line block ×3, first 2 shown]
	v_fmac_f32_e32 v34, 0x3f5db3d7, v56
	v_fmamk_f32 v56, v95, 0xbf5db3d7, v24
	v_fmac_f32_e32 v24, 0x3f5db3d7, v95
	v_fmamk_f32 v57, v98, 0x3f5db3d7, v25
	v_fmac_f32_e32 v25, 0xbf5db3d7, v98
	v_fmac_f32_e32 v38, 0x3f5db3d7, v15
	;; [unrolled: 1-line block ×3, first 2 shown]
	v_add_f32_e32 v2, v7, v113
	v_add_f32_e32 v3, v22, v10
	v_fmamk_f32 v14, v21, 0xbf5db3d7, v36
	v_fmamk_f32 v15, v23, 0x3f5db3d7, v37
	v_fmac_f32_e32 v36, 0x3f5db3d7, v21
	v_fmac_f32_e32 v37, 0xbf5db3d7, v23
	v_fmamk_f32 v17, v75, 0x3f5db3d7, v35
	v_add_f32_e32 v6, v76, v107
	v_add_f32_e32 v7, v79, v18
	v_add_f32_e32 v8, v81, v115
	v_add_f32_e32 v9, v84, v9
	v_add_f32_e32 v10, v87, v117
	v_add_f32_e32 v11, v90, v11
	v_fmac_f32_e32 v35, 0xbf5db3d7, v75
	v_fmamk_f32 v18, v78, 0xbf5db3d7, v32
	v_fmac_f32_e32 v32, 0x3f5db3d7, v78
	v_fmamk_f32 v19, v80, 0x3f5db3d7, v33
	;; [unrolled: 2-line block ×6, first 2 shown]
	v_fmac_f32_e32 v29, 0xbf5db3d7, v92
	ds_write2_b64 v103, v[0:1], v[12:13] offset1:4
	ds_write_b64 v103, v[38:39] offset:64
	ds_write2_b64 v72, v[2:3], v[14:15] offset1:4
	ds_write_b64 v72, v[36:37] offset:64
	;; [unrolled: 2-line block ×6, first 2 shown]
	s_and_saveexec_b32 s1, s0
	s_cbranch_execz .LBB0_17
; %bb.16:
	v_lshrrev_b32_e32 v0, 2, v51
	v_mul_lo_u32 v0, v0, 12
	v_or_b32_e32 v0, v0, v73
	v_lshl_add_u32 v0, v0, 3, 0
	ds_write2_b64 v0, v[26:27], v[56:57] offset1:4
	ds_write_b64 v0, v[24:25] offset:64
.LBB0_17:
	s_or_b32 exec_lo, exec_lo, s1
	v_add_nc_u32_e32 v0, 0x800, v65
	v_add_nc_u32_e32 v1, 0x1800, v65
	;; [unrolled: 1-line block ×6, first 2 shown]
	s_waitcnt lgkmcnt(0)
	s_barrier
	buffer_gl0_inv
	ds_read2_b64 v[12:15], v0 offset0:164 offset1:227
	ds_read2_b64 v[8:11], v1 offset0:72 offset1:135
	;; [unrolled: 1-line block ×4, first 2 shown]
	v_add_nc_u32_e32 v72, v62, v71
	v_add_nc_u32_e32 v71, v61, v63
	ds_read_b64 v[38:39], v65
	ds_read_b64 v[36:37], v68
	;; [unrolled: 1-line block ×4, first 2 shown]
	ds_read2_b64 v[20:23], v16 offset0:160 offset1:223
	ds_read2_b64 v[16:19], v17 offset0:68 offset1:131
	ds_read_b64 v[32:33], v72
	ds_read_b64 v[28:29], v71
	s_and_saveexec_b32 s1, s0
	s_cbranch_execz .LBB0_19
; %bb.18:
	ds_read_b64 v[56:57], v65 offset:6384
	ds_read_b64 v[26:27], v69
	ds_read_b64 v[24:25], v65 offset:9744
.LBB0_19:
	s_or_b32 exec_lo, exec_lo, s1
	v_and_b32_e32 v60, 0xff, v42
	v_and_b32_e32 v62, 0xff, v44
	v_and_b32_e32 v61, 0xff, v55
	v_mov_b32_e32 v74, 0xaaab
	v_mov_b32_e32 v75, 4
	v_mul_lo_u16 v63, 0xab, v60
	v_and_b32_e32 v60, 0xff, v54
	v_mul_lo_u16 v76, 0xab, v62
	v_mul_lo_u16 v77, 0xab, v61
	v_mul_u32_u24_sdwa v78, v53, v74 dst_sel:DWORD dst_unused:UNUSED_PAD src0_sel:WORD_0 src1_sel:DWORD
	v_lshrrev_b16 v106, 11, v63
	v_mul_lo_u16 v63, 0xab, v60
	v_lshrrev_b16 v76, 11, v76
	v_lshrrev_b16 v77, 11, v77
	v_mul_u32_u24_sdwa v79, v52, v74 dst_sel:DWORD dst_unused:UNUSED_PAD src0_sel:WORD_0 src1_sel:DWORD
	v_mul_lo_u16 v80, v106, 12
	v_mul_u32_u24_sdwa v74, v51, v74 dst_sel:DWORD dst_unused:UNUSED_PAD src0_sel:WORD_0 src1_sel:DWORD
	v_lshrrev_b16 v107, 11, v63
	v_mul_lo_u16 v63, v76, 12
	v_lshrrev_b32_e32 v109, 19, v78
	v_mul_lo_u16 v78, v77, 12
	v_sub_nc_u16 v108, v42, v80
	v_lshrrev_b32_e32 v110, 19, v79
	v_sub_nc_u16 v111, v44, v63
	v_lshrrev_b32_e32 v63, 19, v74
	v_mul_lo_u16 v74, v107, 12
	v_sub_nc_u16 v112, v55, v78
	v_lshlrev_b32_sdwa v79, v75, v108 dst_sel:DWORD dst_unused:UNUSED_PAD src0_sel:DWORD src1_sel:BYTE_0
	v_mul_lo_u16 v86, v109, 12
	v_mul_lo_u16 v90, v110, 12
	v_sub_nc_u16 v113, v54, v74
	v_lshlrev_b32_sdwa v74, v75, v112 dst_sel:DWORD dst_unused:UNUSED_PAD src0_sel:DWORD src1_sel:BYTE_0
	global_load_dwordx4 v[78:81], v79, s[12:13] offset:80
	v_sub_nc_u16 v114, v53, v86
	v_sub_nc_u16 v115, v52, v90
	v_lshlrev_b32_sdwa v82, v75, v111 dst_sel:DWORD dst_unused:UNUSED_PAD src0_sel:DWORD src1_sel:BYTE_0
	global_load_dwordx4 v[86:89], v74, s[12:13] offset:80
	v_mul_lo_u16 v74, v63, 12
	v_lshlrev_b32_sdwa v91, v75, v113 dst_sel:DWORD dst_unused:UNUSED_PAD src0_sel:DWORD src1_sel:BYTE_0
	v_lshlrev_b32_sdwa v94, v75, v114 dst_sel:DWORD dst_unused:UNUSED_PAD src0_sel:DWORD src1_sel:WORD_0
	v_lshlrev_b32_sdwa v98, v75, v115 dst_sel:DWORD dst_unused:UNUSED_PAD src0_sel:DWORD src1_sel:WORD_0
	global_load_dwordx4 v[82:85], v82, s[12:13] offset:80
	v_sub_nc_u16 v74, v51, v74
	s_clause 0x1
	global_load_dwordx4 v[90:93], v91, s[12:13] offset:80
	global_load_dwordx4 v[94:97], v94, s[12:13] offset:80
	v_mov_b32_e32 v116, 0x120
	v_mul_u32_u24_e32 v109, 0x120, v109
	v_lshlrev_b32_sdwa v75, v75, v74 dst_sel:DWORD dst_unused:UNUSED_PAD src0_sel:DWORD src1_sel:WORD_0
	s_clause 0x1
	global_load_dwordx4 v[98:101], v98, s[12:13] offset:80
	global_load_dwordx4 v[102:105], v75, s[12:13] offset:80
	v_mov_b32_e32 v75, 3
	v_mul_u32_u24_sdwa v107, v107, v116 dst_sel:DWORD dst_unused:UNUSED_PAD src0_sel:WORD_0 src1_sel:DWORD
	v_mul_u32_u24_sdwa v106, v106, v116 dst_sel:DWORD dst_unused:UNUSED_PAD src0_sel:WORD_0 src1_sel:DWORD
	;; [unrolled: 1-line block ×4, first 2 shown]
	v_lshlrev_b32_sdwa v113, v75, v113 dst_sel:DWORD dst_unused:UNUSED_PAD src0_sel:DWORD src1_sel:BYTE_0
	v_mul_u32_u24_e32 v110, 0x120, v110
	v_lshlrev_b32_sdwa v108, v75, v108 dst_sel:DWORD dst_unused:UNUSED_PAD src0_sel:DWORD src1_sel:BYTE_0
	v_lshlrev_b32_sdwa v111, v75, v111 dst_sel:DWORD dst_unused:UNUSED_PAD src0_sel:DWORD src1_sel:BYTE_0
	;; [unrolled: 1-line block ×3, first 2 shown]
	v_lshlrev_b32_sdwa v114, v75, v114 dst_sel:DWORD dst_unused:UNUSED_PAD src0_sel:DWORD src1_sel:WORD_0
	v_lshlrev_b32_sdwa v115, v75, v115 dst_sel:DWORD dst_unused:UNUSED_PAD src0_sel:DWORD src1_sel:WORD_0
	v_add3_u32 v107, 0, v107, v113
	v_add3_u32 v106, 0, v106, v108
	;; [unrolled: 1-line block ×6, first 2 shown]
	v_sub_nc_u32_e32 v59, 0, v59
	s_waitcnt vmcnt(0) lgkmcnt(0)
	s_barrier
	buffer_gl0_inv
	v_mul_f32_e32 v113, v81, v9
	v_mul_f32_e32 v112, v79, v13
	;; [unrolled: 1-line block ×8, first 2 shown]
	v_fmac_f32_e32 v113, v80, v8
	v_mul_f32_e32 v114, v83, v15
	v_mul_f32_e32 v115, v85, v11
	;; [unrolled: 1-line block ×20, first 2 shown]
	v_fmac_f32_e32 v112, v78, v12
	v_fma_f32 v12, v78, v13, -v79
	v_fma_f32 v9, v80, v9, -v81
	v_fmac_f32_e32 v114, v82, v14
	v_fmac_f32_e32 v115, v84, v10
	;; [unrolled: 1-line block ×3, first 2 shown]
	v_fma_f32 v4, v86, v5, -v87
	v_fmac_f32_e32 v117, v88, v0
	v_fma_f32 v14, v88, v1, -v89
	v_fma_f32 v5, v90, v7, -v91
	v_fmac_f32_e32 v119, v2, v92
	v_fma_f32 v2, v3, v92, -v93
	v_fma_f32 v3, v21, v94, -v95
	;; [unrolled: 1-line block ×4, first 2 shown]
	v_fmac_f32_e32 v77, v56, v102
	v_fma_f32 v1, v57, v102, -v103
	v_fmac_f32_e32 v76, v24, v104
	v_fma_f32 v0, v25, v104, -v8
	v_fma_f32 v13, v82, v15, -v83
	;; [unrolled: 1-line block ×3, first 2 shown]
	v_fmac_f32_e32 v118, v90, v6
	v_fmac_f32_e32 v120, v20, v94
	;; [unrolled: 1-line block ×3, first 2 shown]
	v_fma_f32 v6, v17, v96, -v97
	v_fmac_f32_e32 v122, v22, v98
	v_fmac_f32_e32 v123, v18, v100
	v_add_f32_e32 v10, v112, v113
	v_sub_f32_e32 v21, v12, v9
	v_add_f32_e32 v15, v39, v12
	v_add_f32_e32 v12, v12, v9
	v_add_f32_e32 v17, v114, v115
	v_add_f32_e32 v89, v33, v3
	v_sub_f32_e32 v93, v7, v19
	v_add_f32_e32 v94, v29, v7
	v_add_f32_e32 v7, v7, v19
	v_add_f32_e32 v96, v77, v76
	;; [unrolled: 5-line block ×3, first 2 shown]
	v_add_f32_e32 v78, v4, v14
	v_add_f32_e32 v8, v38, v112
	v_sub_f32_e32 v22, v112, v113
	v_add_f32_e32 v16, v36, v114
	v_add_f32_e32 v20, v34, v116
	v_sub_f32_e32 v56, v4, v14
	;; [unrolled: 3-line block ×3, first 2 shown]
	v_add_f32_e32 v83, v31, v5
	v_add_f32_e32 v84, v5, v2
	;; [unrolled: 1-line block ×3, first 2 shown]
	v_sub_f32_e32 v88, v3, v6
	v_add_f32_e32 v3, v3, v6
	v_add_f32_e32 v92, v122, v123
	v_sub_f32_e32 v5, v1, v0
	v_sub_f32_e32 v4, v77, v76
	v_fma_f32 v38, -0.5, v10, v38
	v_fmac_f32_e32 v39, -0.5, v12
	v_fma_f32 v36, -0.5, v17, v36
	v_add_f32_e32 v17, v89, v6
	v_fmac_f32_e32 v29, -0.5, v7
	v_fma_f32 v6, -0.5, v96, v26
	v_fma_f32 v7, -0.5, v97, v27
	v_sub_f32_e32 v24, v114, v115
	v_fmac_f32_e32 v37, -0.5, v13
	v_sub_f32_e32 v79, v116, v117
	v_fma_f32 v34, -0.5, v25, v34
	v_fmac_f32_e32 v35, -0.5, v78
	v_add_f32_e32 v80, v30, v118
	v_sub_f32_e32 v85, v118, v119
	v_add_f32_e32 v86, v32, v120
	v_sub_f32_e32 v90, v120, v121
	;; [unrolled: 2-line block ×3, first 2 shown]
	v_add_f32_e32 v8, v8, v113
	v_add_f32_e32 v9, v15, v9
	v_add_f32_e32 v12, v20, v117
	v_fma_f32 v30, -0.5, v81, v30
	v_add_f32_e32 v15, v83, v2
	v_fmac_f32_e32 v31, -0.5, v84
	v_fma_f32 v32, -0.5, v87, v32
	v_fmac_f32_e32 v33, -0.5, v3
	v_fma_f32 v28, -0.5, v92, v28
	v_fmamk_f32 v20, v21, 0xbf5db3d7, v38
	v_fmac_f32_e32 v38, 0x3f5db3d7, v21
	v_fmamk_f32 v21, v22, 0x3f5db3d7, v39
	v_fmamk_f32 v2, v5, 0x3f5db3d7, v6
	;; [unrolled: 1-line block ×3, first 2 shown]
	v_fmac_f32_e32 v39, 0xbf5db3d7, v22
	v_add_f32_e32 v10, v16, v115
	v_add_f32_e32 v11, v18, v11
	v_fmamk_f32 v22, v23, 0xbf5db3d7, v36
	v_fmac_f32_e32 v36, 0x3f5db3d7, v23
	v_fmamk_f32 v23, v24, 0x3f5db3d7, v37
	v_fmac_f32_e32 v37, 0xbf5db3d7, v24
	v_add_f32_e32 v13, v57, v14
	v_fmamk_f32 v24, v56, 0xbf5db3d7, v34
	v_fmamk_f32 v25, v79, 0x3f5db3d7, v35
	v_add_f32_e32 v14, v80, v119
	v_add_f32_e32 v16, v86, v121
	;; [unrolled: 1-line block ×4, first 2 shown]
	v_fmac_f32_e32 v34, 0x3f5db3d7, v56
	v_fmac_f32_e32 v35, 0xbf5db3d7, v79
	v_fmamk_f32 v56, v82, 0xbf5db3d7, v30
	v_fmac_f32_e32 v30, 0x3f5db3d7, v82
	v_fmamk_f32 v57, v85, 0x3f5db3d7, v31
	v_fmac_f32_e32 v31, 0xbf5db3d7, v85
	v_fmamk_f32 v78, v88, 0xbf5db3d7, v32
	v_fmac_f32_e32 v32, 0x3f5db3d7, v88
	v_fmamk_f32 v79, v90, 0x3f5db3d7, v33
	v_fmac_f32_e32 v33, 0xbf5db3d7, v90
	v_fmamk_f32 v80, v93, 0xbf5db3d7, v28
	v_fmac_f32_e32 v28, 0x3f5db3d7, v93
	v_fmamk_f32 v81, v95, 0x3f5db3d7, v29
	v_fmac_f32_e32 v29, 0xbf5db3d7, v95
	ds_write2_b64 v106, v[8:9], v[20:21] offset1:12
	ds_write_b64 v106, v[38:39] offset:192
	ds_write2_b64 v108, v[10:11], v[22:23] offset1:12
	ds_write_b64 v108, v[36:37] offset:192
	;; [unrolled: 2-line block ×6, first 2 shown]
	s_and_saveexec_b32 s1, s0
	s_cbranch_execz .LBB0_21
; %bb.20:
	v_mul_f32_e32 v8, 0x3f5db3d7, v5
	v_mul_lo_u16 v5, v63, 36
	v_add_f32_e32 v1, v27, v1
	v_add_f32_e32 v9, v26, v77
	v_mul_f32_e32 v4, 0x3f5db3d7, v4
	v_lshlrev_b32_sdwa v10, v75, v74 dst_sel:DWORD dst_unused:UNUSED_PAD src0_sel:DWORD src1_sel:WORD_0
	v_lshlrev_b32_sdwa v11, v75, v5 dst_sel:DWORD dst_unused:UNUSED_PAD src0_sel:DWORD src1_sel:WORD_0
	v_add_f32_e32 v1, v1, v0
	v_add_f32_e32 v0, v9, v76
	;; [unrolled: 1-line block ×3, first 2 shown]
	v_sub_f32_e32 v4, v6, v8
	v_add3_u32 v6, 0, v10, v11
	ds_write2_b64 v6, v[0:1], v[4:5] offset1:12
	ds_write_b64 v6, v[2:3] offset:192
.LBB0_21:
	s_or_b32 exec_lo, exec_lo, s1
	v_mul_lo_u16 v0, v62, 57
	v_mul_lo_u16 v1, v61, 57
	v_subrev_nc_u32_e32 v9, 36, v42
	v_cmp_gt_u32_e64 s0, 36, v42
	v_mov_b32_e32 v6, 5
	v_lshrrev_b16 v0, 11, v0
	v_lshrrev_b16 v4, 11, v1
	v_mov_b32_e32 v57, 0
	v_cndmask_b32_e64 v109, v9, v42, s0
	s_waitcnt lgkmcnt(0)
	v_mul_lo_u16 v5, v0, 36
	v_mul_lo_u16 v7, v4, 36
	s_barrier
	v_lshlrev_b32_e32 v56, 2, v109
	buffer_gl0_inv
	v_sub_nc_u16 v1, v44, v5
	v_mul_lo_u16 v5, v60, 57
	v_sub_nc_u16 v107, v55, v7
	v_add_nc_u32_e32 v74, v58, v59
	v_add_nc_u32_e32 v76, 0x1400, v65
	v_lshlrev_b32_sdwa v8, v6, v1 dst_sel:DWORD dst_unused:UNUSED_PAD src0_sel:DWORD src1_sel:BYTE_0
	v_lshrrev_b16 v106, 11, v5
	v_lshlrev_b32_sdwa v7, v6, v107 dst_sel:DWORD dst_unused:UNUSED_PAD src0_sel:DWORD src1_sel:BYTE_0
	v_add_nc_u32_e32 v77, 0x800, v65
	v_add_nc_u32_e32 v78, 0x1c00, v65
	s_clause 0x1
	global_load_dwordx4 v[36:39], v8, s[12:13] offset:272
	global_load_dwordx4 v[32:35], v8, s[12:13] offset:288
	v_mul_lo_u16 v5, v106, 36
	s_clause 0x1
	global_load_dwordx4 v[12:15], v7, s[12:13] offset:272
	global_load_dwordx4 v[16:19], v7, s[12:13] offset:288
	v_add_nc_u32_e32 v81, 0xc00, v65
	v_add_nc_u32_e32 v80, 0x1000, v65
	v_sub_nc_u16 v108, v54, v5
	v_add_nc_u32_e32 v79, 0x1800, v65
	v_lshlrev_b32_e32 v116, 3, v109
	v_lshlrev_b32_sdwa v1, v75, v1 dst_sel:DWORD dst_unused:UNUSED_PAD src0_sel:DWORD src1_sel:BYTE_0
	v_lshlrev_b32_sdwa v117, v75, v107 dst_sel:DWORD dst_unused:UNUSED_PAD src0_sel:DWORD src1_sel:BYTE_0
	;; [unrolled: 1-line block ×3, first 2 shown]
	v_lshlrev_b64 v[5:6], 3, v[56:57]
	v_add_nc_u32_e32 v56, 0x2000, v65
	v_lshlrev_b32_sdwa v75, v75, v108 dst_sel:DWORD dst_unused:UNUSED_PAD src0_sel:DWORD src1_sel:BYTE_0
	v_add_nc_u32_e32 v114, 0x400, v65
	s_clause 0x1
	global_load_dwordx4 v[28:31], v8, s[12:13] offset:272
	global_load_dwordx4 v[24:27], v8, s[12:13] offset:288
	v_add_co_u32 v5, s0, s12, v5
	v_add_co_ci_u32_e64 v6, s0, s13, v6, s0
	s_clause 0x1
	global_load_dwordx4 v[20:23], v[5:6], off offset:272
	global_load_dwordx4 v[8:11], v[5:6], off offset:288
	v_mov_b32_e32 v5, 0x5a0
	ds_read_b64 v[62:63], v65
	ds_read_b64 v[60:61], v68
	;; [unrolled: 1-line block ×6, first 2 shown]
	ds_read2_b64 v[82:85], v76 offset0:116 offset1:179
	ds_read2_b64 v[86:89], v77 offset0:59 offset1:122
	;; [unrolled: 1-line block ×6, first 2 shown]
	v_cmp_lt_u32_e64 s0, 35, v42
	v_mul_u32_u24_sdwa v0, v0, v5 dst_sel:DWORD dst_unused:UNUSED_PAD src0_sel:WORD_0 src1_sel:DWORD
	v_mul_u32_u24_sdwa v4, v4, v5 dst_sel:DWORD dst_unused:UNUSED_PAD src0_sel:WORD_0 src1_sel:DWORD
	;; [unrolled: 1-line block ×3, first 2 shown]
	ds_read2_b64 v[106:109], v56 offset0:110 offset1:173
	v_cndmask_b32_e64 v115, 0, 0x5a0, s0
	s_waitcnt vmcnt(0) lgkmcnt(0)
	v_add3_u32 v117, 0, v4, v117
	v_add3_u32 v75, 0, v5, v75
	s_barrier
	v_add3_u32 v115, 0, v115, v116
	v_add3_u32 v116, 0, v0, v1
	buffer_gl0_inv
	v_cmp_gt_u32_e64 s0, 54, v42
	v_mul_f32_e32 v0, v87, v37
	v_mul_f32_e32 v1, v86, v37
	;; [unrolled: 1-line block ×16, first 2 shown]
	v_fmac_f32_e32 v0, v86, v36
	v_mul_f32_e32 v122, v95, v29
	v_mul_f32_e32 v29, v94, v29
	v_fma_f32 v1, v87, v36, -v1
	v_fmac_f32_e32 v4, v96, v38
	v_fma_f32 v5, v97, v38, -v5
	v_mul_f32_e32 v38, v101, v31
	v_mul_f32_e32 v31, v100, v31
	;; [unrolled: 1-line block ×4, first 2 shown]
	v_fmac_f32_e32 v39, v84, v32
	v_fma_f32 v32, v85, v32, -v33
	v_fmac_f32_e32 v118, v92, v34
	v_fma_f32 v33, v93, v34, -v35
	v_mul_f32_e32 v34, v109, v27
	v_mul_f32_e32 v27, v108, v27
	v_fmac_f32_e32 v37, v88, v12
	v_fma_f32 v12, v89, v12, -v13
	v_mul_f32_e32 v84, v23, v113
	v_mul_f32_e32 v13, v23, v112
	;; [unrolled: 1-line block ×8, first 2 shown]
	v_fmac_f32_e32 v119, v98, v14
	v_fmac_f32_e32 v120, v102, v16
	;; [unrolled: 1-line block ×3, first 2 shown]
	v_fma_f32 v14, v99, v14, -v15
	v_fma_f32 v23, v103, v16, -v17
	;; [unrolled: 1-line block ×3, first 2 shown]
	v_fmac_f32_e32 v122, v94, v28
	v_fma_f32 v15, v95, v28, -v29
	v_fma_f32 v16, v101, v30, -v31
	v_fmac_f32_e32 v86, v104, v24
	v_fma_f32 v24, v105, v24, -v25
	v_fma_f32 v89, v109, v26, -v27
	v_fmac_f32_e32 v84, v22, v112
	v_fma_f32 v18, v22, v113, -v13
	v_fmac_f32_e32 v85, v8, v82
	v_fma_f32 v8, v8, v83, -v9
	v_fma_f32 v82, v10, v91, -v11
	v_sub_f32_e32 v11, v0, v4
	v_sub_f32_e32 v13, v118, v39
	v_add_f32_e32 v25, v5, v32
	v_fmac_f32_e32 v35, v20, v110
	v_fma_f32 v17, v20, v111, -v21
	v_fmac_f32_e32 v87, v10, v90
	v_add_f32_e32 v22, v61, v1
	v_add_f32_e32 v36, v58, v37
	;; [unrolled: 1-line block ×4, first 2 shown]
	v_fmac_f32_e32 v38, v100, v30
	v_fmac_f32_e32 v34, v108, v26
	v_add_f32_e32 v9, v60, v0
	v_add_f32_e32 v10, v4, v39
	;; [unrolled: 1-line block ×3, first 2 shown]
	v_sub_f32_e32 v20, v4, v0
	v_sub_f32_e32 v21, v39, v118
	v_add_f32_e32 v27, v1, v33
	v_sub_f32_e32 v93, v37, v119
	v_sub_f32_e32 v94, v121, v120
	;; [unrolled: 1-line block ×4, first 2 shown]
	v_add_f32_e32 v98, v59, v12
	v_sub_f32_e32 v102, v12, v14
	v_sub_f32_e32 v103, v88, v23
	;; [unrolled: 1-line block ×4, first 2 shown]
	v_add_f32_e32 v107, v6, v122
	v_sub_f32_e32 v109, v15, v89
	v_add_f32_e32 v125, v7, v15
	v_sub_f32_e32 v128, v15, v16
	;; [unrolled: 2-line block ×3, first 2 shown]
	v_sub_f32_e32 v131, v24, v89
	v_add_f32_e32 v133, v84, v85
	v_add_f32_e32 v135, v11, v13
	v_fma_f32 v13, -0.5, v25, v61
	v_add_f32_e32 v25, v18, v8
	v_sub_f32_e32 v29, v1, v33
	v_sub_f32_e32 v30, v5, v32
	;; [unrolled: 1-line block ×7, first 2 shown]
	v_add_f32_e32 v5, v22, v5
	v_add_f32_e32 v11, v35, v87
	;; [unrolled: 1-line block ×3, first 2 shown]
	v_fma_f32 v36, -0.5, v90, v58
	v_fma_f32 v58, -0.5, v95, v58
	v_add_f32_e32 v95, v17, v82
	v_add_f32_e32 v99, v14, v23
	;; [unrolled: 1-line block ×3, first 2 shown]
	v_sub_f32_e32 v83, v4, v39
	v_sub_f32_e32 v91, v12, v88
	;; [unrolled: 1-line block ×3, first 2 shown]
	v_add_f32_e32 v108, v38, v86
	v_sub_f32_e32 v111, v122, v38
	v_add_f32_e32 v113, v122, v34
	v_sub_f32_e32 v123, v38, v122
	;; [unrolled: 2-line block ×3, first 2 shown]
	v_add_f32_e32 v132, v62, v35
	v_add_f32_e32 v4, v9, v4
	v_sub_f32_e32 v134, v17, v82
	v_fma_f32 v12, -0.5, v10, v60
	v_fma_f32 v60, -0.5, v19, v60
	v_add_f32_e32 v137, v20, v21
	v_sub_f32_e32 v9, v35, v84
	v_sub_f32_e32 v10, v87, v85
	;; [unrolled: 1-line block ×3, first 2 shown]
	v_fmac_f32_e32 v61, -0.5, v27
	v_add_f32_e32 v21, v63, v17
	v_sub_f32_e32 v35, v35, v87
	v_add_f32_e32 v93, v93, v94
	v_add_f32_e32 v94, v96, v97
	;; [unrolled: 1-line block ×8, first 2 shown]
	v_fma_f32 v14, -0.5, v133, v62
	v_fma_f32 v15, -0.5, v25, v63
	v_sub_f32_e32 v136, v18, v8
	v_add_f32_e32 v138, v0, v26
	v_add_f32_e32 v139, v1, v28
	v_sub_f32_e32 v90, v84, v85
	v_sub_f32_e32 v26, v17, v18
	;; [unrolled: 1-line block ×5, first 2 shown]
	v_fma_f32 v62, -0.5, v11, v62
	v_fmac_f32_e32 v63, -0.5, v95
	v_sub_f32_e32 v100, v37, v121
	v_sub_f32_e32 v101, v119, v120
	;; [unrolled: 1-line block ×3, first 2 shown]
	v_fma_f32 v37, -0.5, v99, v59
	v_fmac_f32_e32 v59, -0.5, v104
	v_sub_f32_e32 v110, v16, v24
	v_sub_f32_e32 v112, v34, v86
	;; [unrolled: 1-line block ×5, first 2 shown]
	v_fma_f32 v0, -0.5, v108, v6
	v_fma_f32 v6, -0.5, v113, v6
	;; [unrolled: 1-line block ×3, first 2 shown]
	v_fmac_f32_e32 v7, -0.5, v130
	v_add_f32_e32 v84, v132, v84
	v_add_f32_e32 v106, v9, v10
	v_add_f32_e32 v9, v21, v18
	v_add_f32_e32 v38, v38, v86
	v_add_f32_e32 v86, v103, v24
	v_fmamk_f32 v24, v134, 0xbf737871, v14
	v_fmamk_f32 v25, v35, 0x3f737871, v15
	v_add_f32_e32 v108, v26, v28
	v_add_f32_e32 v95, v17, v97
	v_add_f32_e32 v97, v27, v23
	v_fmamk_f32 v26, v136, 0x3f737871, v62
	v_fmac_f32_e32 v62, 0xbf737871, v136
	v_fmamk_f32 v27, v90, 0xbf737871, v63
	v_fmac_f32_e32 v63, 0x3f737871, v90
	v_fmac_f32_e32 v14, 0x3f737871, v134
	;; [unrolled: 1-line block ×3, first 2 shown]
	v_fmamk_f32 v16, v29, 0xbf737871, v12
	v_fmamk_f32 v17, v31, 0x3f737871, v13
	v_add_f32_e32 v107, v19, v20
	v_add_f32_e32 v28, v4, v39
	v_fmac_f32_e32 v12, 0x3f737871, v29
	v_fmamk_f32 v18, v30, 0x3f737871, v60
	v_fmac_f32_e32 v60, 0xbf737871, v30
	v_fmac_f32_e32 v13, 0xbf737871, v31
	v_fmamk_f32 v19, v83, 0xbf737871, v61
	v_fmac_f32_e32 v61, 0x3f737871, v83
	v_add_f32_e32 v39, v22, v120
	v_fmamk_f32 v20, v91, 0xbf737871, v36
	v_fmamk_f32 v22, v92, 0x3f737871, v58
	v_fmac_f32_e32 v58, 0xbf737871, v92
	v_fmamk_f32 v21, v100, 0x3f737871, v37
	v_fmamk_f32 v23, v101, 0xbf737871, v59
	v_fmac_f32_e32 v59, 0x3f737871, v101
	v_add_f32_e32 v32, v5, v32
	v_fmac_f32_e32 v36, 0x3f737871, v91
	v_fmac_f32_e32 v37, 0xbf737871, v100
	v_fmamk_f32 v10, v109, 0xbf737871, v0
	v_fmac_f32_e32 v0, 0x3f737871, v109
	v_fmamk_f32 v4, v110, 0x3f737871, v6
	;; [unrolled: 2-line block ×4, first 2 shown]
	v_fmac_f32_e32 v7, 0x3f737871, v127
	v_add_f32_e32 v84, v84, v85
	v_add_f32_e32 v85, v9, v8
	v_fmac_f32_e32 v24, 0xbf167918, v136
	v_fmac_f32_e32 v25, 0x3f167918, v90
	;; [unrolled: 1-line block ×22, first 2 shown]
	v_add_f32_e32 v99, v111, v112
	v_add_f32_e32 v102, v123, v124
	;; [unrolled: 1-line block ×4, first 2 shown]
	v_fmac_f32_e32 v36, 0x3f167918, v92
	v_fmac_f32_e32 v37, 0xbf167918, v101
	;; [unrolled: 1-line block ×10, first 2 shown]
	v_add_f32_e32 v32, v84, v87
	v_add_f32_e32 v33, v85, v82
	v_fmac_f32_e32 v24, 0x3e9e377a, v106
	v_fmac_f32_e32 v25, 0x3e9e377a, v108
	;; [unrolled: 1-line block ×8, first 2 shown]
	v_add_f32_e32 v28, v28, v118
	v_fmac_f32_e32 v16, 0x3e9e377a, v135
	v_fmac_f32_e32 v17, 0x3e9e377a, v138
	v_add_f32_e32 v30, v39, v121
	v_add_f32_e32 v31, v97, v88
	v_fmac_f32_e32 v12, 0x3e9e377a, v135
	v_fmac_f32_e32 v18, 0x3e9e377a, v137
	;; [unrolled: 1-line block ×12, first 2 shown]
	v_add_f32_e32 v8, v38, v34
	v_add_f32_e32 v9, v86, v89
	v_fmac_f32_e32 v36, 0x3e9e377a, v93
	v_fmac_f32_e32 v37, 0x3e9e377a, v96
	;; [unrolled: 1-line block ×10, first 2 shown]
	ds_write2_b64 v115, v[32:33], v[24:25] offset1:36
	ds_write2_b64 v115, v[26:27], v[62:63] offset0:72 offset1:108
	ds_write_b64 v115, v[14:15] offset:1152
	ds_write2_b64 v116, v[28:29], v[16:17] offset1:36
	ds_write2_b64 v116, v[18:19], v[60:61] offset0:72 offset1:108
	ds_write_b64 v116, v[12:13] offset:1152
	;; [unrolled: 3-line block ×4, first 2 shown]
	s_waitcnt lgkmcnt(0)
	s_barrier
	buffer_gl0_inv
	ds_read2_b64 v[12:15], v65 offset1:180
	ds_read2_b64 v[16:19], v114 offset0:115 offset1:232
	ds_read2_b64 v[20:23], v81 offset0:39 offset1:156
	;; [unrolled: 1-line block ×5, first 2 shown]
	ds_read_b64 v[38:39], v68
	ds_read_b64 v[58:59], v65 offset:9144
	s_and_saveexec_b32 s1, s0
	s_cbranch_execz .LBB0_23
; %bb.22:
	ds_read_b64 v[36:37], v67
	ds_read2_b64 v[8:11], v77 offset0:50 offset1:230
	ds_read2_b64 v[4:7], v76 offset0:26 offset1:206
	;; [unrolled: 1-line block ×3, first 2 shown]
.LBB0_23:
	s_or_b32 exec_lo, exec_lo, s1
	v_mul_u32_u24_e32 v56, 6, v42
	v_add_nc_u32_e32 v95, 0xa00, v68
	v_add_nc_u32_e32 v96, 0x1600, v68
	v_lshlrev_b32_e32 v79, 3, v56
	v_mul_i32_i24_e32 v56, 6, v44
	s_clause 0x1
	global_load_dwordx4 v[60:63], v79, s[12:13] offset:1424
	global_load_dwordx4 v[75:78], v79, s[12:13] offset:1440
	v_lshlrev_b64 v[56:57], 3, v[56:57]
	global_load_dwordx4 v[79:82], v79, s[12:13] offset:1456
	v_add_co_u32 v56, s1, s12, v56
	v_add_co_ci_u32_e64 v57, s1, s13, v57, s1
	s_clause 0x2
	global_load_dwordx4 v[83:86], v[56:57], off offset:1424
	global_load_dwordx4 v[87:90], v[56:57], off offset:1440
	;; [unrolled: 1-line block ×3, first 2 shown]
	v_add_nc_u32_e32 v56, 0xa00, v65
	v_add_nc_u32_e32 v57, 0x1600, v65
	s_waitcnt vmcnt(0) lgkmcnt(0)
	s_barrier
	buffer_gl0_inv
	v_mul_f32_e32 v97, v61, v15
	v_mul_f32_e32 v61, v61, v14
	;; [unrolled: 1-line block ×12, first 2 shown]
	v_fmac_f32_e32 v97, v60, v14
	v_fma_f32 v14, v60, v15, -v61
	v_fmac_f32_e32 v98, v62, v18
	v_fma_f32 v15, v62, v19, -v63
	;; [unrolled: 2-line block ×6, first 2 shown]
	v_mul_f32_e32 v26, v84, v17
	v_mul_f32_e32 v27, v84, v16
	v_mul_f32_e32 v30, v86, v21
	v_mul_f32_e32 v31, v86, v20
	v_mul_f32_e32 v34, v25, v88
	v_mul_f32_e32 v62, v33, v92
	v_mul_f32_e32 v63, v32, v92
	v_mul_f32_e32 v75, v59, v94
	v_mul_f32_e32 v76, v58, v94
	v_mul_f32_e32 v35, v24, v88
	v_mul_f32_e32 v60, v29, v90
	v_mul_f32_e32 v61, v28, v90
	v_add_f32_e32 v77, v97, v102
	v_add_f32_e32 v78, v14, v23
	v_sub_f32_e32 v14, v14, v23
	v_add_f32_e32 v23, v98, v101
	v_add_f32_e32 v80, v15, v22
	v_sub_f32_e32 v81, v98, v101
	v_sub_f32_e32 v15, v15, v22
	v_add_f32_e32 v22, v99, v100
	v_add_f32_e32 v82, v18, v19
	v_sub_f32_e32 v84, v100, v99
	v_sub_f32_e32 v18, v19, v18
	v_fmac_f32_e32 v26, v83, v16
	v_fma_f32 v16, v83, v17, -v27
	v_fmac_f32_e32 v30, v85, v20
	v_fma_f32 v17, v85, v21, -v31
	v_fmac_f32_e32 v34, v24, v87
	v_fmac_f32_e32 v62, v32, v91
	v_fma_f32 v21, v33, v91, -v63
	v_fmac_f32_e32 v75, v58, v93
	v_fma_f32 v24, v59, v93, -v76
	v_sub_f32_e32 v79, v97, v102
	v_fma_f32 v19, v25, v87, -v35
	v_fmac_f32_e32 v60, v28, v89
	v_fma_f32 v20, v29, v89, -v61
	v_add_f32_e32 v25, v23, v77
	v_add_f32_e32 v27, v80, v78
	v_sub_f32_e32 v28, v23, v77
	v_sub_f32_e32 v29, v80, v78
	;; [unrolled: 1-line block ×5, first 2 shown]
	v_add_f32_e32 v35, v84, v81
	v_add_f32_e32 v58, v18, v15
	v_sub_f32_e32 v59, v84, v81
	v_sub_f32_e32 v61, v18, v15
	;; [unrolled: 1-line block ×3, first 2 shown]
	v_add_f32_e32 v77, v26, v75
	v_add_f32_e32 v78, v16, v24
	v_sub_f32_e32 v26, v26, v75
	v_sub_f32_e32 v16, v16, v24
	v_add_f32_e32 v24, v30, v62
	v_add_f32_e32 v75, v17, v21
	v_sub_f32_e32 v33, v82, v80
	v_sub_f32_e32 v63, v79, v84
	;; [unrolled: 1-line block ×6, first 2 shown]
	v_add_f32_e32 v21, v34, v60
	v_add_f32_e32 v62, v19, v20
	v_sub_f32_e32 v34, v60, v34
	v_sub_f32_e32 v19, v20, v19
	v_add_f32_e32 v20, v22, v25
	v_add_f32_e32 v22, v82, v27
	;; [unrolled: 1-line block ×4, first 2 shown]
	v_mul_f32_e32 v27, 0x3f4a47b2, v31
	v_mul_f32_e32 v31, 0x3f4a47b2, v32
	;; [unrolled: 1-line block ×6, first 2 shown]
	v_add_f32_e32 v79, v24, v77
	v_add_f32_e32 v80, v75, v78
	v_mul_f32_e32 v35, 0x3d64c772, v33
	v_mul_f32_e32 v60, 0xbf5ff5aa, v76
	v_sub_f32_e32 v81, v24, v77
	v_sub_f32_e32 v82, v75, v78
	;; [unrolled: 1-line block ×6, first 2 shown]
	v_add_f32_e32 v83, v34, v30
	v_add_f32_e32 v84, v19, v17
	v_sub_f32_e32 v85, v34, v30
	v_sub_f32_e32 v86, v19, v17
	;; [unrolled: 1-line block ×4, first 2 shown]
	v_add_f32_e32 v12, v20, v12
	v_add_f32_e32 v13, v22, v13
	v_fmamk_f32 v23, v23, 0x3d64c772, v27
	v_fmamk_f32 v33, v33, 0x3d64c772, v31
	v_fma_f32 v32, 0x3f3bfb3b, v28, -v32
	v_fma_f32 v27, 0xbf3bfb3b, v28, -v27
	;; [unrolled: 1-line block ×3, first 2 shown]
	v_fmamk_f32 v31, v18, 0xbeae86e6, v59
	v_fma_f32 v59, 0xbf5ff5aa, v15, -v59
	v_fma_f32 v61, 0x3eae86e6, v18, -v61
	v_add_f32_e32 v18, v21, v79
	v_add_f32_e32 v21, v62, v80
	v_sub_f32_e32 v34, v26, v34
	v_sub_f32_e32 v19, v16, v19
	v_fma_f32 v35, 0x3f3bfb3b, v29, -v35
	v_fmamk_f32 v29, v63, 0xbeae86e6, v58
	v_fma_f32 v58, 0xbf5ff5aa, v76, -v58
	v_fma_f32 v60, 0x3eae86e6, v63, -v60
	v_add_f32_e32 v26, v83, v26
	v_mul_f32_e32 v62, 0x3f4a47b2, v77
	v_mul_f32_e32 v63, 0x3f4a47b2, v78
	;; [unrolled: 1-line block ×8, first 2 shown]
	v_fmamk_f32 v20, v20, 0xbf955555, v12
	v_fmamk_f32 v22, v22, 0xbf955555, v13
	v_fmac_f32_e32 v31, 0xbee1c552, v14
	v_fmac_f32_e32 v59, 0xbee1c552, v14
	;; [unrolled: 1-line block ×3, first 2 shown]
	v_add_f32_e32 v14, v18, v38
	v_add_f32_e32 v15, v21, v39
	;; [unrolled: 1-line block ×3, first 2 shown]
	v_fmac_f32_e32 v29, 0xbee1c552, v25
	v_fmac_f32_e32 v58, 0xbee1c552, v25
	;; [unrolled: 1-line block ×3, first 2 shown]
	v_fmamk_f32 v38, v24, 0x3d64c772, v62
	v_fmamk_f32 v39, v75, 0x3d64c772, v63
	v_fma_f32 v75, 0x3f3bfb3b, v81, -v76
	v_fma_f32 v76, 0x3f3bfb3b, v82, -v77
	;; [unrolled: 1-line block ×3, first 2 shown]
	v_fmamk_f32 v77, v34, 0xbeae86e6, v78
	v_fmamk_f32 v81, v19, 0xbeae86e6, v79
	v_fma_f32 v30, 0xbf5ff5aa, v30, -v78
	v_fma_f32 v78, 0xbf5ff5aa, v17, -v79
	;; [unrolled: 1-line block ×4, first 2 shown]
	v_add_f32_e32 v80, v23, v20
	v_add_f32_e32 v33, v33, v22
	;; [unrolled: 1-line block ×6, first 2 shown]
	v_fmamk_f32 v28, v18, 0xbf955555, v14
	v_fmamk_f32 v32, v21, 0xbf955555, v15
	v_fma_f32 v63, 0xbf3bfb3b, v82, -v63
	v_fmac_f32_e32 v77, 0xbee1c552, v26
	v_fmac_f32_e32 v81, 0xbee1c552, v16
	;; [unrolled: 1-line block ×6, first 2 shown]
	v_add_f32_e32 v16, v31, v80
	v_sub_f32_e32 v17, v33, v29
	v_add_f32_e32 v18, v61, v25
	v_sub_f32_e32 v19, v27, v60
	v_sub_f32_e32 v20, v23, v59
	v_add_f32_e32 v21, v58, v24
	v_add_f32_e32 v22, v59, v23
	v_sub_f32_e32 v23, v24, v58
	v_sub_f32_e32 v24, v25, v61
	v_add_f32_e32 v25, v60, v27
	v_sub_f32_e32 v26, v80, v31
	v_add_f32_e32 v27, v29, v33
	v_add_f32_e32 v29, v38, v28
	;; [unrolled: 1-line block ×7, first 2 shown]
	ds_write2_b64 v65, v[12:13], v[16:17] offset1:180
	ds_write2_b64 v56, v[18:19], v[20:21] offset0:40 offset1:220
	ds_write2_b64 v57, v[22:23], v[24:25] offset0:16 offset1:196
	v_add_f32_e32 v12, v81, v29
	v_sub_f32_e32 v13, v31, v77
	v_add_f32_e32 v16, v79, v28
	v_sub_f32_e32 v17, v32, v34
	v_sub_f32_e32 v18, v33, v78
	v_add_f32_e32 v19, v30, v35
	v_add_f32_e32 v20, v78, v33
	v_sub_f32_e32 v21, v35, v30
	v_sub_f32_e32 v22, v28, v79
	v_add_f32_e32 v23, v34, v32
	v_sub_f32_e32 v24, v29, v81
	v_add_f32_e32 v25, v77, v31
	ds_write_b64 v65, v[26:27] offset:8640
	ds_write2_b64 v68, v[14:15], v[12:13] offset1:180
	ds_write2_b64 v95, v[16:17], v[18:19] offset0:40 offset1:220
	ds_write2_b64 v96, v[20:21], v[22:23] offset0:16 offset1:196
	ds_write_b64 v68, v[24:25] offset:8640
	s_and_saveexec_b32 s1, s0
	s_cbranch_execz .LBB0_25
; %bb.24:
	v_subrev_nc_u32_e32 v12, 54, v42
	v_mov_b32_e32 v13, 0
	v_add_nc_u32_e32 v24, 0x200, v65
	v_add_nc_u32_e32 v25, 0xe00, v65
	;; [unrolled: 1-line block ×3, first 2 shown]
	v_cndmask_b32_e64 v12, v12, v55, s0
	v_mul_i32_i24_e32 v12, 6, v12
	v_lshlrev_b64 v[12:13], 3, v[12:13]
	v_add_co_u32 v20, s0, s12, v12
	v_add_co_ci_u32_e64 v21, s0, s13, v13, s0
	s_clause 0x2
	global_load_dwordx4 v[12:15], v[20:21], off offset:1424
	global_load_dwordx4 v[16:19], v[20:21], off offset:1456
	;; [unrolled: 1-line block ×3, first 2 shown]
	s_waitcnt vmcnt(2)
	v_mul_f32_e32 v27, v9, v13
	s_waitcnt vmcnt(1)
	v_mul_f32_e32 v28, v3, v19
	s_waitcnt vmcnt(0)
	v_mul_f32_e32 v30, v5, v21
	v_mul_f32_e32 v31, v11, v15
	v_mul_f32_e32 v32, v1, v17
	;; [unrolled: 1-line block ×9, first 2 shown]
	v_fmac_f32_e32 v27, v8, v12
	v_fmac_f32_e32 v28, v2, v18
	;; [unrolled: 1-line block ×4, first 2 shown]
	v_fma_f32 v0, v3, v18, -v19
	v_fma_f32 v2, v9, v12, -v13
	;; [unrolled: 1-line block ×5, first 2 shown]
	v_fmac_f32_e32 v29, v6, v22
	v_fmac_f32_e32 v30, v4, v20
	v_fma_f32 v4, v7, v22, -v23
	v_add_f32_e32 v9, v2, v0
	v_add_f32_e32 v11, v5, v1
	v_add_f32_e32 v12, v27, v28
	v_add_f32_e32 v14, v31, v32
	v_sub_f32_e32 v6, v27, v28
	v_sub_f32_e32 v7, v29, v30
	;; [unrolled: 1-line block ×3, first 2 shown]
	v_add_f32_e32 v10, v3, v4
	v_add_f32_e32 v13, v30, v29
	v_sub_f32_e32 v0, v2, v0
	v_sub_f32_e32 v2, v4, v3
	v_sub_f32_e32 v1, v5, v1
	v_add_f32_e32 v16, v11, v9
	v_add_f32_e32 v19, v14, v12
	v_sub_f32_e32 v3, v6, v7
	v_sub_f32_e32 v4, v7, v8
	v_add_f32_e32 v5, v7, v8
	v_sub_f32_e32 v7, v9, v10
	v_sub_f32_e32 v15, v10, v11
	;; [unrolled: 1-line block ×6, first 2 shown]
	v_add_f32_e32 v2, v2, v1
	v_sub_f32_e32 v8, v8, v6
	v_sub_f32_e32 v9, v11, v9
	;; [unrolled: 1-line block ×4, first 2 shown]
	v_add_f32_e32 v10, v10, v16
	v_add_f32_e32 v13, v13, v19
	v_mul_f32_e32 v4, 0x3f08b237, v4
	v_add_f32_e32 v5, v5, v6
	v_mul_f32_e32 v6, 0x3f4a47b2, v7
	v_mul_f32_e32 v7, 0x3d64c772, v15
	;; [unrolled: 1-line block ×4, first 2 shown]
	v_add_f32_e32 v2, v2, v0
	v_mul_f32_e32 v19, 0xbf5ff5aa, v8
	v_mul_f32_e32 v21, 0xbf5ff5aa, v12
	v_add_f32_e32 v1, v37, v10
	v_add_f32_e32 v0, v36, v13
	v_mul_f32_e32 v16, 0x3d64c772, v18
	v_fmamk_f32 v22, v3, 0xbeae86e6, v4
	v_fmamk_f32 v15, v15, 0x3d64c772, v6
	;; [unrolled: 1-line block ×4, first 2 shown]
	v_fma_f32 v19, 0x3eae86e6, v3, -v19
	v_fma_f32 v3, 0xbf3bfb3b, v9, -v6
	;; [unrolled: 1-line block ×6, first 2 shown]
	v_fmamk_f32 v9, v10, 0xbf955555, v1
	v_fmamk_f32 v10, v13, 0xbf955555, v0
	v_fma_f32 v8, 0xbf5ff5aa, v8, -v4
	v_fma_f32 v4, 0x3f3bfb3b, v11, -v16
	v_fmac_f32_e32 v22, 0xbee1c552, v5
	v_fmac_f32_e32 v23, 0xbee1c552, v2
	;; [unrolled: 1-line block ×4, first 2 shown]
	v_add_f32_e32 v2, v15, v9
	v_add_f32_e32 v15, v18, v10
	v_fmac_f32_e32 v19, 0xbee1c552, v5
	v_fmac_f32_e32 v8, 0xbee1c552, v5
	v_add_f32_e32 v11, v3, v9
	v_add_f32_e32 v6, v6, v10
	v_add_f32_e32 v9, v7, v9
	v_add_f32_e32 v16, v4, v10
	v_sub_f32_e32 v13, v2, v22
	v_add_f32_e32 v12, v23, v15
	v_add_f32_e32 v5, v19, v11
	v_sub_f32_e32 v7, v9, v8
	v_add_f32_e32 v9, v8, v9
	v_sub_f32_e32 v8, v16, v17
	v_sub_f32_e32 v11, v11, v19
	v_add_f32_e32 v10, v14, v6
	v_sub_f32_e32 v4, v6, v14
	v_add_f32_e32 v6, v17, v16
	v_add_f32_e32 v3, v22, v2
	v_sub_f32_e32 v2, v15, v23
	ds_write2_b64 v24, v[0:1], v[12:13] offset0:62 offset1:242
	ds_write2_b64 v25, v[10:11], v[8:9] offset0:38 offset1:218
	;; [unrolled: 1-line block ×3, first 2 shown]
	ds_write_b64 v65, v[2:3] offset:9648
.LBB0_25:
	s_or_b32 exec_lo, exec_lo, s1
	s_waitcnt lgkmcnt(0)
	s_barrier
	buffer_gl0_inv
	ds_read_b64 v[2:3], v65
	v_sub_nc_u32_e32 v4, 0, v43
	s_add_u32 s1, s12, 0x2750
	s_addc_u32 s4, s13, 0
	s_mov_b32 s5, exec_lo
                                        ; implicit-def: $vgpr0
                                        ; implicit-def: $vgpr7
                                        ; implicit-def: $vgpr8
	v_cmpx_ne_u32_e32 0, v42
	s_xor_b32 s5, exec_lo, s5
	s_cbranch_execz .LBB0_27
; %bb.26:
	v_mov_b32_e32 v43, 0
	v_lshlrev_b64 v[0:1], 3, v[42:43]
	v_add_co_u32 v0, s0, s1, v0
	v_add_co_ci_u32_e64 v1, s0, s4, v1, s0
	global_load_dwordx2 v[5:6], v[0:1], off
	ds_read_b64 v[0:1], v4 offset:10080
	s_waitcnt lgkmcnt(0)
	v_sub_f32_e32 v7, v2, v0
	v_add_f32_e32 v8, v1, v3
	v_sub_f32_e32 v1, v3, v1
	v_add_f32_e32 v0, v0, v2
	v_mul_f32_e32 v3, 0.5, v7
	v_mul_f32_e32 v2, 0.5, v8
	;; [unrolled: 1-line block ×3, first 2 shown]
	s_waitcnt vmcnt(0)
	v_mul_f32_e32 v8, v6, v3
	v_fma_f32 v9, v2, v6, v1
	v_fma_f32 v1, v2, v6, -v1
	v_fma_f32 v7, 0.5, v0, v8
	v_fma_f32 v0, v0, 0.5, -v8
	v_fma_f32 v8, -v5, v3, v9
	v_fma_f32 v1, -v5, v3, v1
	v_fmac_f32_e32 v7, v5, v2
	v_fma_f32 v0, -v5, v2, v0
                                        ; implicit-def: $vgpr2_vgpr3
.LBB0_27:
	s_or_saveexec_b32 s0, s5
	v_sub_nc_u32_e32 v6, 0, v45
	v_sub_nc_u32_e32 v5, 0, v70
	s_xor_b32 exec_lo, exec_lo, s0
	s_cbranch_execz .LBB0_29
; %bb.28:
	v_mov_b32_e32 v8, 0
	s_waitcnt lgkmcnt(0)
	v_add_f32_e32 v7, v2, v3
	v_sub_f32_e32 v0, v2, v3
	ds_read_b32 v1, v8 offset:5044
	s_waitcnt lgkmcnt(0)
	v_xor_b32_e32 v2, 0x80000000, v1
	v_mov_b32_e32 v1, 0
	ds_write_b32 v8, v2 offset:5044
.LBB0_29:
	s_or_b32 exec_lo, exec_lo, s0
	v_mov_b32_e32 v45, 0
	ds_write2_b32 v65, v7, v8 offset1:1
	ds_write_b64 v4, v[0:1] offset:10080
	v_add_nc_u32_e32 v6, v66, v6
	s_waitcnt lgkmcnt(2)
	v_lshlrev_b64 v[2:3], 3, v[44:45]
	v_mov_b32_e32 v56, v45
	v_lshlrev_b64 v[9:10], 3, v[55:56]
	v_add_co_u32 v2, s0, s1, v2
	v_add_co_ci_u32_e64 v3, s0, s4, v3, s0
	v_mov_b32_e32 v55, v45
	v_add_co_u32 v9, s0, s1, v9
	global_load_dwordx2 v[2:3], v[2:3], off
	v_add_co_ci_u32_e64 v10, s0, s4, v10, s0
	v_lshlrev_b64 v[11:12], 3, v[54:55]
	v_mov_b32_e32 v54, v45
	global_load_dwordx2 v[9:10], v[9:10], off
	v_add_co_u32 v11, s0, s1, v11
	v_add_co_ci_u32_e64 v12, s0, s4, v12, s0
	v_lshlrev_b64 v[13:14], 3, v[53:54]
	v_mov_b32_e32 v53, v45
	global_load_dwordx2 v[11:12], v[11:12], off
	v_add_co_u32 v13, s0, s1, v13
	;; [unrolled: 5-line block ×5, first 2 shown]
	v_add_co_ci_u32_e64 v8, s0, s4, v20, s0
	ds_read_b64 v[0:1], v68
	ds_read_b64 v[19:20], v4 offset:9576
	global_load_dwordx2 v[7:8], v[7:8], off
	s_waitcnt lgkmcnt(0)
	v_sub_f32_e32 v21, v0, v19
	v_add_f32_e32 v22, v1, v20
	v_sub_f32_e32 v1, v1, v20
	v_add_f32_e32 v0, v0, v19
	v_mul_f32_e32 v20, 0.5, v21
	v_mul_f32_e32 v21, 0.5, v22
	;; [unrolled: 1-line block ×3, first 2 shown]
	s_waitcnt vmcnt(6)
	v_mul_f32_e32 v19, v3, v20
	v_fma_f32 v22, v21, v3, v1
	v_fma_f32 v3, v21, v3, -v1
	v_fma_f32 v23, 0.5, v0, v19
	v_fma_f32 v19, v0, 0.5, -v19
	v_lshlrev_b64 v[0:1], 3, v[49:50]
	v_fma_f32 v22, -v2, v20, v22
	v_fma_f32 v3, -v2, v20, v3
	v_fmac_f32_e32 v23, v2, v21
	v_fma_f32 v2, -v2, v21, v19
	v_mov_b32_e32 v49, v45
	v_add_co_u32 v0, s0, s1, v0
	v_add_co_ci_u32_e64 v1, s0, s4, v1, s0
	ds_write2_b32 v68, v23, v22 offset1:1
	ds_write_b64 v4, v[2:3] offset:9576
	ds_read_b64 v[2:3], v67
	ds_read_b64 v[19:20], v4 offset:9072
	global_load_dwordx2 v[0:1], v[0:1], off
	s_waitcnt lgkmcnt(0)
	v_sub_f32_e32 v21, v2, v19
	v_add_f32_e32 v22, v3, v20
	v_sub_f32_e32 v3, v3, v20
	v_add_f32_e32 v19, v2, v19
	v_mul_f32_e32 v20, 0.5, v21
	v_mul_f32_e32 v21, 0.5, v22
	;; [unrolled: 1-line block ×3, first 2 shown]
	v_lshlrev_b64 v[2:3], 3, v[48:49]
	s_waitcnt vmcnt(6)
	v_mul_f32_e32 v23, v10, v20
	v_fma_f32 v24, v21, v10, v22
	v_fma_f32 v10, v21, v10, -v22
	v_add_co_u32 v2, s0, s1, v2
	v_add_co_ci_u32_e64 v3, s0, s4, v3, s0
	v_fma_f32 v22, 0.5, v19, v23
	v_fma_f32 v19, v19, 0.5, -v23
	v_fma_f32 v23, -v9, v20, v24
	global_load_dwordx2 v[2:3], v[2:3], off
	v_fma_f32 v10, -v9, v20, v10
	v_fmac_f32_e32 v22, v9, v21
	v_fma_f32 v9, -v9, v21, v19
	ds_write2_b32 v67, v22, v23 offset1:1
	ds_write_b64 v4, v[9:10] offset:9072
	ds_read_b64 v[9:10], v73
	ds_read_b64 v[19:20], v4 offset:8568
	s_waitcnt lgkmcnt(0)
	v_sub_f32_e32 v21, v9, v19
	v_add_f32_e32 v22, v10, v20
	v_sub_f32_e32 v10, v10, v20
	v_add_f32_e32 v9, v9, v19
	v_mul_f32_e32 v20, 0.5, v21
	v_mul_f32_e32 v21, 0.5, v22
	v_mul_f32_e32 v10, 0.5, v10
	s_waitcnt vmcnt(6)
	v_mul_f32_e32 v19, v12, v20
	v_fma_f32 v22, v21, v12, v10
	v_fma_f32 v10, v21, v12, -v10
	v_fma_f32 v12, 0.5, v9, v19
	v_fma_f32 v9, v9, 0.5, -v19
	v_fma_f32 v19, -v11, v20, v22
	v_fma_f32 v10, -v11, v20, v10
	v_fmac_f32_e32 v12, v11, v21
	v_fma_f32 v9, -v11, v21, v9
	ds_write_b32 v73, v19 offset:4
	ds_write_b32 v4, v10 offset:8572
	ds_write_b32 v73, v12
	ds_write_b32 v4, v9 offset:8568
	ds_read_b64 v[9:10], v72
	ds_read_b64 v[11:12], v4 offset:8064
	s_waitcnt lgkmcnt(0)
	v_sub_f32_e32 v19, v9, v11
	v_add_f32_e32 v20, v10, v12
	v_sub_f32_e32 v10, v10, v12
	v_add_f32_e32 v9, v9, v11
	v_mul_f32_e32 v12, 0.5, v19
	v_mul_f32_e32 v19, 0.5, v20
	v_mul_f32_e32 v10, 0.5, v10
	s_waitcnt vmcnt(5)
	v_mul_f32_e32 v11, v14, v12
	v_fma_f32 v20, v19, v14, v10
	v_fma_f32 v10, v19, v14, -v10
	v_fma_f32 v14, 0.5, v9, v11
	v_fma_f32 v9, v9, 0.5, -v11
	v_fma_f32 v11, -v13, v12, v20
	v_fma_f32 v10, -v13, v12, v10
	v_fmac_f32_e32 v14, v13, v19
	v_fma_f32 v9, -v13, v19, v9
	ds_write_b32 v72, v11 offset:4
	ds_write_b32 v4, v10 offset:8068
	ds_write_b32 v72, v14
	ds_write_b32 v4, v9 offset:8064
	;; [unrolled: 24-line block ×5, first 2 shown]
	ds_read_b64 v[6:7], v74
	ds_read_b64 v[8:9], v4 offset:6048
	s_waitcnt lgkmcnt(0)
	v_sub_f32_e32 v10, v6, v8
	v_add_f32_e32 v11, v7, v9
	v_sub_f32_e32 v7, v7, v9
	v_add_f32_e32 v6, v6, v8
	v_mul_f32_e32 v9, 0.5, v10
	v_mul_f32_e32 v10, 0.5, v11
	;; [unrolled: 1-line block ×3, first 2 shown]
	s_waitcnt vmcnt(1)
	v_mul_f32_e32 v8, v1, v9
	v_fma_f32 v11, v10, v1, v7
	v_fma_f32 v1, v10, v1, -v7
	v_fma_f32 v7, 0.5, v6, v8
	v_fma_f32 v6, v6, 0.5, -v8
	v_fma_f32 v8, -v0, v9, v11
	v_fma_f32 v1, -v0, v9, v1
	v_add_nc_u32_e32 v9, v64, v5
	v_fmac_f32_e32 v7, v0, v10
	v_fma_f32 v0, -v0, v10, v6
	ds_write_b32 v74, v8 offset:4
	ds_write_b32 v4, v1 offset:6052
	ds_write_b32 v74, v7
	ds_write_b32 v4, v0 offset:6048
	ds_read_b64 v[0:1], v9
	ds_read_b64 v[5:6], v4 offset:5544
	s_waitcnt lgkmcnt(0)
	v_sub_f32_e32 v7, v0, v5
	v_add_f32_e32 v8, v1, v6
	v_sub_f32_e32 v1, v1, v6
	v_add_f32_e32 v0, v0, v5
	v_mul_f32_e32 v6, 0.5, v7
	v_mul_f32_e32 v7, 0.5, v8
	;; [unrolled: 1-line block ×3, first 2 shown]
	s_waitcnt vmcnt(0)
	v_mul_f32_e32 v5, v3, v6
	v_fma_f32 v8, v7, v3, v1
	v_fma_f32 v1, v7, v3, -v1
	v_fma_f32 v3, 0.5, v0, v5
	v_fma_f32 v0, v0, 0.5, -v5
	v_fma_f32 v5, -v2, v6, v8
	v_fma_f32 v1, -v2, v6, v1
	v_fmac_f32_e32 v3, v2, v7
	v_fma_f32 v0, -v2, v7, v0
	ds_write_b32 v9, v5 offset:4
	ds_write_b32 v4, v1 offset:5548
	ds_write_b32 v9, v3
	ds_write_b32 v4, v0 offset:5544
	s_waitcnt lgkmcnt(0)
	s_barrier
	buffer_gl0_inv
	s_and_saveexec_b32 s0, vcc_lo
	s_cbranch_execz .LBB0_32
; %bb.30:
	v_mul_lo_u32 v2, s3, v46
	v_mul_lo_u32 v3, s2, v47
	v_mad_u64_u32 v[0:1], null, s2, v46, 0
	v_lshl_add_u32 v24, v42, 3, 0
	v_mov_b32_e32 v43, v45
	v_lshlrev_b64 v[6:7], 3, v[40:41]
	v_add_nc_u32_e32 v44, 63, v42
	v_add_nc_u32_e32 v18, 0xc00, v24
	v_add3_u32 v1, v1, v3, v2
	ds_read2_b64 v[2:5], v24 offset1:63
	v_lshlrev_b64 v[8:9], 3, v[42:43]
	v_lshlrev_b64 v[10:11], 3, v[44:45]
	v_add_nc_u32_e32 v44, 0x7e, v42
	v_lshlrev_b64 v[0:1], 3, v[0:1]
	v_lshlrev_b64 v[14:15], 3, v[44:45]
	v_add_nc_u32_e32 v44, 0xbd, v42
	v_add_co_u32 v0, vcc_lo, s10, v0
	v_add_co_ci_u32_e32 v1, vcc_lo, s11, v1, vcc_lo
	v_add_co_u32 v0, vcc_lo, v0, v6
	v_add_co_ci_u32_e32 v1, vcc_lo, v1, v7, vcc_lo
	;; [unrolled: 2-line block ×3, first 2 shown]
	ds_read2_b64 v[6:9], v24 offset0:126 offset1:189
	v_add_co_u32 v10, vcc_lo, v0, v10
	v_add_co_ci_u32_e32 v11, vcc_lo, v1, v11, vcc_lo
	s_waitcnt lgkmcnt(1)
	global_store_dwordx2 v[12:13], v[2:3], off
	global_store_dwordx2 v[10:11], v[4:5], off
	v_lshlrev_b64 v[2:3], 3, v[44:45]
	v_add_co_u32 v4, vcc_lo, v0, v14
	v_add_co_ci_u32_e32 v5, vcc_lo, v1, v15, vcc_lo
	v_add_nc_u32_e32 v44, 0xfc, v42
	v_add_co_u32 v2, vcc_lo, v0, v2
	v_add_co_ci_u32_e32 v3, vcc_lo, v1, v3, vcc_lo
	v_add_nc_u32_e32 v12, 0x400, v24
	v_lshlrev_b64 v[10:11], 3, v[44:45]
	s_waitcnt lgkmcnt(0)
	global_store_dwordx2 v[4:5], v[6:7], off
	v_add_nc_u32_e32 v6, 0x800, v24
	v_add_nc_u32_e32 v44, 0x13b, v42
	global_store_dwordx2 v[2:3], v[8:9], off
	ds_read2_b64 v[2:5], v12 offset0:124 offset1:187
	v_add_co_u32 v10, vcc_lo, v0, v10
	ds_read2_b64 v[6:9], v6 offset0:122 offset1:185
	v_lshlrev_b64 v[12:13], 3, v[44:45]
	v_add_nc_u32_e32 v44, 0x17a, v42
	v_add_co_ci_u32_e32 v11, vcc_lo, v1, v11, vcc_lo
	v_lshlrev_b64 v[14:15], 3, v[44:45]
	v_add_co_u32 v12, vcc_lo, v0, v12
	v_add_co_ci_u32_e32 v13, vcc_lo, v1, v13, vcc_lo
	v_add_nc_u32_e32 v44, 0x1b9, v42
	v_add_co_u32 v14, vcc_lo, v0, v14
	v_add_co_ci_u32_e32 v15, vcc_lo, v1, v15, vcc_lo
	v_lshlrev_b64 v[16:17], 3, v[44:45]
	v_add_nc_u32_e32 v44, 0x1f8, v42
	s_waitcnt lgkmcnt(1)
	global_store_dwordx2 v[10:11], v[2:3], off
	global_store_dwordx2 v[12:13], v[4:5], off
	s_waitcnt lgkmcnt(0)
	global_store_dwordx2 v[14:15], v[6:7], off
	ds_read2_b64 v[2:5], v18 offset0:120 offset1:183
	v_lshlrev_b64 v[6:7], 3, v[44:45]
	v_add_nc_u32_e32 v44, 0x237, v42
	v_add_co_u32 v10, vcc_lo, v0, v16
	v_add_co_ci_u32_e32 v11, vcc_lo, v1, v17, vcc_lo
	v_lshlrev_b64 v[12:13], 3, v[44:45]
	v_add_nc_u32_e32 v44, 0x276, v42
	v_add_co_u32 v6, vcc_lo, v0, v6
	v_add_co_ci_u32_e32 v7, vcc_lo, v1, v7, vcc_lo
	v_add_co_u32 v12, vcc_lo, v0, v12
	v_lshlrev_b64 v[14:15], 3, v[44:45]
	v_add_nc_u32_e32 v44, 0x2b5, v42
	v_add_co_ci_u32_e32 v13, vcc_lo, v1, v13, vcc_lo
	global_store_dwordx2 v[10:11], v[8:9], off
	s_waitcnt lgkmcnt(0)
	global_store_dwordx2 v[6:7], v[2:3], off
	global_store_dwordx2 v[12:13], v[4:5], off
	v_lshlrev_b64 v[10:11], 3, v[44:45]
	v_add_nc_u32_e32 v44, 0x2f4, v42
	v_add_nc_u32_e32 v16, 0x1000, v24
	;; [unrolled: 1-line block ×3, first 2 shown]
	v_add_co_u32 v14, vcc_lo, v0, v14
	v_lshlrev_b64 v[12:13], 3, v[44:45]
	v_add_nc_u32_e32 v44, 0x333, v42
	v_add_co_ci_u32_e32 v15, vcc_lo, v1, v15, vcc_lo
	ds_read2_b64 v[2:5], v16 offset0:118 offset1:181
	v_add_co_u32 v16, vcc_lo, v0, v10
	ds_read2_b64 v[6:9], v6 offset0:116 offset1:179
	v_add_co_ci_u32_e32 v17, vcc_lo, v1, v11, vcc_lo
	v_lshlrev_b64 v[10:11], 3, v[44:45]
	v_add_co_u32 v18, vcc_lo, v0, v12
	v_add_nc_u32_e32 v12, 0x1800, v24
	v_add_co_ci_u32_e32 v19, vcc_lo, v1, v13, vcc_lo
	v_add_co_u32 v20, vcc_lo, v0, v10
	v_add_nc_u32_e32 v44, 0x372, v42
	v_add_co_ci_u32_e32 v21, vcc_lo, v1, v11, vcc_lo
	ds_read2_b64 v[10:13], v12 offset0:114 offset1:177
	s_waitcnt lgkmcnt(2)
	global_store_dwordx2 v[14:15], v[2:3], off
	global_store_dwordx2 v[16:17], v[4:5], off
	s_waitcnt lgkmcnt(1)
	global_store_dwordx2 v[18:19], v[6:7], off
	global_store_dwordx2 v[20:21], v[8:9], off
	v_lshlrev_b64 v[22:23], 3, v[44:45]
	v_add_nc_u32_e32 v44, 0x3b1, v42
	v_add_nc_u32_e32 v6, 0x1c00, v24
	;; [unrolled: 1-line block ×3, first 2 shown]
	v_lshlrev_b64 v[2:3], 3, v[44:45]
	v_add_nc_u32_e32 v44, 0x3f0, v42
	v_add_co_u32 v4, vcc_lo, v0, v22
	v_add_co_ci_u32_e32 v5, vcc_lo, v1, v23, vcc_lo
	v_lshlrev_b64 v[14:15], 3, v[44:45]
	v_add_nc_u32_e32 v44, 0x42f, v42
	v_add_co_u32 v2, vcc_lo, v0, v2
	v_add_co_ci_u32_e32 v3, vcc_lo, v1, v3, vcc_lo
	s_waitcnt lgkmcnt(0)
	global_store_dwordx2 v[4:5], v[10:11], off
	v_lshlrev_b64 v[10:11], 3, v[44:45]
	v_add_nc_u32_e32 v44, 0x46e, v42
	global_store_dwordx2 v[2:3], v[12:13], off
	v_add_co_u32 v12, vcc_lo, v0, v14
	ds_read2_b64 v[2:5], v6 offset0:112 offset1:175
	v_add_co_ci_u32_e32 v13, vcc_lo, v1, v15, vcc_lo
	v_lshlrev_b64 v[14:15], 3, v[44:45]
	v_add_nc_u32_e32 v44, 0x4ad, v42
	ds_read2_b64 v[6:9], v7 offset0:110 offset1:173
	v_add_co_u32 v10, vcc_lo, v0, v10
	v_add_co_ci_u32_e32 v11, vcc_lo, v1, v11, vcc_lo
	v_lshlrev_b64 v[16:17], 3, v[44:45]
	v_add_co_u32 v14, vcc_lo, v0, v14
	v_add_co_ci_u32_e32 v15, vcc_lo, v1, v15, vcc_lo
	v_add_co_u32 v16, vcc_lo, v0, v16
	v_add_co_ci_u32_e32 v17, vcc_lo, v1, v17, vcc_lo
	v_cmp_eq_u32_e32 vcc_lo, 62, v42
	s_waitcnt lgkmcnt(1)
	global_store_dwordx2 v[12:13], v[2:3], off
	global_store_dwordx2 v[10:11], v[4:5], off
	s_waitcnt lgkmcnt(0)
	global_store_dwordx2 v[14:15], v[6:7], off
	global_store_dwordx2 v[16:17], v[8:9], off
	s_and_b32 exec_lo, exec_lo, vcc_lo
	s_cbranch_execz .LBB0_32
; %bb.31:
	v_mov_b32_e32 v2, 0
	v_add_co_u32 v0, vcc_lo, 0x2000, v0
	v_add_co_ci_u32_e32 v1, vcc_lo, 0, v1, vcc_lo
	ds_read_b64 v[2:3], v2 offset:10080
	s_waitcnt lgkmcnt(0)
	global_store_dwordx2 v[0:1], v[2:3], off offset:1888
.LBB0_32:
	s_endpgm
	.section	.rodata,"a",@progbits
	.p2align	6, 0x0
	.amdhsa_kernel fft_rtc_back_len1260_factors_2_2_3_3_5_7_wgs_63_tpt_63_halfLds_sp_op_CI_CI_unitstride_sbrr_R2C_dirReg
		.amdhsa_group_segment_fixed_size 0
		.amdhsa_private_segment_fixed_size 0
		.amdhsa_kernarg_size 104
		.amdhsa_user_sgpr_count 6
		.amdhsa_user_sgpr_private_segment_buffer 1
		.amdhsa_user_sgpr_dispatch_ptr 0
		.amdhsa_user_sgpr_queue_ptr 0
		.amdhsa_user_sgpr_kernarg_segment_ptr 1
		.amdhsa_user_sgpr_dispatch_id 0
		.amdhsa_user_sgpr_flat_scratch_init 0
		.amdhsa_user_sgpr_private_segment_size 0
		.amdhsa_wavefront_size32 1
		.amdhsa_uses_dynamic_stack 0
		.amdhsa_system_sgpr_private_segment_wavefront_offset 0
		.amdhsa_system_sgpr_workgroup_id_x 1
		.amdhsa_system_sgpr_workgroup_id_y 0
		.amdhsa_system_sgpr_workgroup_id_z 0
		.amdhsa_system_sgpr_workgroup_info 0
		.amdhsa_system_vgpr_workitem_id 0
		.amdhsa_next_free_vgpr 140
		.amdhsa_next_free_sgpr 27
		.amdhsa_reserve_vcc 1
		.amdhsa_reserve_flat_scratch 0
		.amdhsa_float_round_mode_32 0
		.amdhsa_float_round_mode_16_64 0
		.amdhsa_float_denorm_mode_32 3
		.amdhsa_float_denorm_mode_16_64 3
		.amdhsa_dx10_clamp 1
		.amdhsa_ieee_mode 1
		.amdhsa_fp16_overflow 0
		.amdhsa_workgroup_processor_mode 1
		.amdhsa_memory_ordered 1
		.amdhsa_forward_progress 0
		.amdhsa_shared_vgpr_count 0
		.amdhsa_exception_fp_ieee_invalid_op 0
		.amdhsa_exception_fp_denorm_src 0
		.amdhsa_exception_fp_ieee_div_zero 0
		.amdhsa_exception_fp_ieee_overflow 0
		.amdhsa_exception_fp_ieee_underflow 0
		.amdhsa_exception_fp_ieee_inexact 0
		.amdhsa_exception_int_div_zero 0
	.end_amdhsa_kernel
	.text
.Lfunc_end0:
	.size	fft_rtc_back_len1260_factors_2_2_3_3_5_7_wgs_63_tpt_63_halfLds_sp_op_CI_CI_unitstride_sbrr_R2C_dirReg, .Lfunc_end0-fft_rtc_back_len1260_factors_2_2_3_3_5_7_wgs_63_tpt_63_halfLds_sp_op_CI_CI_unitstride_sbrr_R2C_dirReg
                                        ; -- End function
	.section	.AMDGPU.csdata,"",@progbits
; Kernel info:
; codeLenInByte = 14240
; NumSgprs: 29
; NumVgprs: 140
; ScratchSize: 0
; MemoryBound: 0
; FloatMode: 240
; IeeeMode: 1
; LDSByteSize: 0 bytes/workgroup (compile time only)
; SGPRBlocks: 3
; VGPRBlocks: 17
; NumSGPRsForWavesPerEU: 29
; NumVGPRsForWavesPerEU: 140
; Occupancy: 7
; WaveLimiterHint : 1
; COMPUTE_PGM_RSRC2:SCRATCH_EN: 0
; COMPUTE_PGM_RSRC2:USER_SGPR: 6
; COMPUTE_PGM_RSRC2:TRAP_HANDLER: 0
; COMPUTE_PGM_RSRC2:TGID_X_EN: 1
; COMPUTE_PGM_RSRC2:TGID_Y_EN: 0
; COMPUTE_PGM_RSRC2:TGID_Z_EN: 0
; COMPUTE_PGM_RSRC2:TIDIG_COMP_CNT: 0
	.text
	.p2alignl 6, 3214868480
	.fill 48, 4, 3214868480
	.type	__hip_cuid_f93804ea8071c708,@object ; @__hip_cuid_f93804ea8071c708
	.section	.bss,"aw",@nobits
	.globl	__hip_cuid_f93804ea8071c708
__hip_cuid_f93804ea8071c708:
	.byte	0                               ; 0x0
	.size	__hip_cuid_f93804ea8071c708, 1

	.ident	"AMD clang version 19.0.0git (https://github.com/RadeonOpenCompute/llvm-project roc-6.4.0 25133 c7fe45cf4b819c5991fe208aaa96edf142730f1d)"
	.section	".note.GNU-stack","",@progbits
	.addrsig
	.addrsig_sym __hip_cuid_f93804ea8071c708
	.amdgpu_metadata
---
amdhsa.kernels:
  - .args:
      - .actual_access:  read_only
        .address_space:  global
        .offset:         0
        .size:           8
        .value_kind:     global_buffer
      - .offset:         8
        .size:           8
        .value_kind:     by_value
      - .actual_access:  read_only
        .address_space:  global
        .offset:         16
        .size:           8
        .value_kind:     global_buffer
      - .actual_access:  read_only
        .address_space:  global
        .offset:         24
        .size:           8
        .value_kind:     global_buffer
      - .actual_access:  read_only
        .address_space:  global
        .offset:         32
        .size:           8
        .value_kind:     global_buffer
      - .offset:         40
        .size:           8
        .value_kind:     by_value
      - .actual_access:  read_only
        .address_space:  global
        .offset:         48
        .size:           8
        .value_kind:     global_buffer
      - .actual_access:  read_only
        .address_space:  global
        .offset:         56
        .size:           8
        .value_kind:     global_buffer
      - .offset:         64
        .size:           4
        .value_kind:     by_value
      - .actual_access:  read_only
        .address_space:  global
        .offset:         72
        .size:           8
        .value_kind:     global_buffer
      - .actual_access:  read_only
        .address_space:  global
        .offset:         80
        .size:           8
        .value_kind:     global_buffer
      - .actual_access:  read_only
        .address_space:  global
        .offset:         88
        .size:           8
        .value_kind:     global_buffer
      - .actual_access:  write_only
        .address_space:  global
        .offset:         96
        .size:           8
        .value_kind:     global_buffer
    .group_segment_fixed_size: 0
    .kernarg_segment_align: 8
    .kernarg_segment_size: 104
    .language:       OpenCL C
    .language_version:
      - 2
      - 0
    .max_flat_workgroup_size: 63
    .name:           fft_rtc_back_len1260_factors_2_2_3_3_5_7_wgs_63_tpt_63_halfLds_sp_op_CI_CI_unitstride_sbrr_R2C_dirReg
    .private_segment_fixed_size: 0
    .sgpr_count:     29
    .sgpr_spill_count: 0
    .symbol:         fft_rtc_back_len1260_factors_2_2_3_3_5_7_wgs_63_tpt_63_halfLds_sp_op_CI_CI_unitstride_sbrr_R2C_dirReg.kd
    .uniform_work_group_size: 1
    .uses_dynamic_stack: false
    .vgpr_count:     140
    .vgpr_spill_count: 0
    .wavefront_size: 32
    .workgroup_processor_mode: 1
amdhsa.target:   amdgcn-amd-amdhsa--gfx1030
amdhsa.version:
  - 1
  - 2
...

	.end_amdgpu_metadata
